;; amdgpu-corpus repo=ROCm/rocFFT kind=compiled arch=gfx950 opt=O3
	.text
	.amdgcn_target "amdgcn-amd-amdhsa--gfx950"
	.amdhsa_code_object_version 6
	.protected	fft_rtc_fwd_len1625_factors_13_5_5_5_wgs_130_tpt_65_halfLds_dp_op_CI_CI_sbrr_dirReg ; -- Begin function fft_rtc_fwd_len1625_factors_13_5_5_5_wgs_130_tpt_65_halfLds_dp_op_CI_CI_sbrr_dirReg
	.globl	fft_rtc_fwd_len1625_factors_13_5_5_5_wgs_130_tpt_65_halfLds_dp_op_CI_CI_sbrr_dirReg
	.p2align	8
	.type	fft_rtc_fwd_len1625_factors_13_5_5_5_wgs_130_tpt_65_halfLds_dp_op_CI_CI_sbrr_dirReg,@function
fft_rtc_fwd_len1625_factors_13_5_5_5_wgs_130_tpt_65_halfLds_dp_op_CI_CI_sbrr_dirReg: ; @fft_rtc_fwd_len1625_factors_13_5_5_5_wgs_130_tpt_65_halfLds_dp_op_CI_CI_sbrr_dirReg
; %bb.0:
	s_load_dwordx4 s[12:15], s[0:1], 0x18
	s_load_dwordx4 s[8:11], s[0:1], 0x0
	;; [unrolled: 1-line block ×3, first 2 shown]
	v_mul_u32_u24_e32 v1, 0x3f1, v0
	v_lshrrev_b32_e32 v106, 16, v1
	s_waitcnt lgkmcnt(0)
	s_load_dwordx2 s[18:19], s[12:13], 0x0
	s_load_dwordx2 s[16:17], s[14:15], 0x0
	v_lshl_add_u32 v6, s2, 1, v106
	v_mov_b32_e32 v2, 0
	v_cmp_lt_u64_e64 s[2:3], s[10:11], 2
	v_mov_b32_e32 v7, v2
	s_and_b64 vcc, exec, s[2:3]
	v_mov_b64_e32 v[4:5], 0
	s_cbranch_vccnz .LBB0_8
; %bb.1:
	s_load_dwordx2 s[2:3], s[0:1], 0x10
	s_add_u32 s20, s14, 8
	s_addc_u32 s21, s15, 0
	s_add_u32 s22, s12, 8
	s_addc_u32 s23, s13, 0
	s_waitcnt lgkmcnt(0)
	s_add_u32 s24, s2, 8
	v_mov_b64_e32 v[4:5], 0
	s_addc_u32 s25, s3, 0
	s_mov_b64 s[26:27], 1
	v_mov_b64_e32 v[120:121], v[4:5]
.LBB0_2:                                ; =>This Inner Loop Header: Depth=1
	s_load_dwordx2 s[28:29], s[24:25], 0x0
                                        ; implicit-def: $vgpr104_vgpr105
	s_waitcnt lgkmcnt(0)
	v_or_b32_e32 v3, s29, v7
	v_cmp_ne_u64_e32 vcc, 0, v[2:3]
	s_and_saveexec_b64 s[2:3], vcc
	s_xor_b64 s[30:31], exec, s[2:3]
	s_cbranch_execz .LBB0_4
; %bb.3:                                ;   in Loop: Header=BB0_2 Depth=1
	v_cvt_f32_u32_e32 v1, s28
	v_cvt_f32_u32_e32 v3, s29
	s_sub_u32 s2, 0, s28
	s_subb_u32 s3, 0, s29
	v_fmac_f32_e32 v1, 0x4f800000, v3
	v_rcp_f32_e32 v1, v1
	s_nop 0
	v_mul_f32_e32 v1, 0x5f7ffffc, v1
	v_mul_f32_e32 v3, 0x2f800000, v1
	v_trunc_f32_e32 v3, v3
	v_fmac_f32_e32 v1, 0xcf800000, v3
	v_cvt_u32_f32_e32 v3, v3
	v_cvt_u32_f32_e32 v1, v1
	v_mul_lo_u32 v8, s2, v3
	v_mul_hi_u32 v10, s2, v1
	v_mul_lo_u32 v9, s3, v1
	v_add_u32_e32 v10, v10, v8
	v_mul_lo_u32 v12, s2, v1
	v_add_u32_e32 v13, v10, v9
	v_mul_hi_u32 v8, v1, v12
	v_mul_hi_u32 v11, v1, v13
	v_mul_lo_u32 v10, v1, v13
	v_mov_b32_e32 v9, v2
	v_lshl_add_u64 v[8:9], v[8:9], 0, v[10:11]
	v_mul_hi_u32 v11, v3, v12
	v_mul_lo_u32 v12, v3, v12
	v_add_co_u32_e32 v8, vcc, v8, v12
	v_mul_hi_u32 v10, v3, v13
	s_nop 0
	v_addc_co_u32_e32 v8, vcc, v9, v11, vcc
	v_mov_b32_e32 v9, v2
	s_nop 0
	v_addc_co_u32_e32 v11, vcc, 0, v10, vcc
	v_mul_lo_u32 v10, v3, v13
	v_lshl_add_u64 v[8:9], v[8:9], 0, v[10:11]
	v_add_co_u32_e32 v1, vcc, v1, v8
	v_mul_lo_u32 v10, s2, v1
	s_nop 0
	v_addc_co_u32_e32 v3, vcc, v3, v9, vcc
	v_mul_lo_u32 v8, s2, v3
	v_mul_hi_u32 v9, s2, v1
	v_add_u32_e32 v8, v9, v8
	v_mul_lo_u32 v9, s3, v1
	v_add_u32_e32 v12, v8, v9
	v_mul_hi_u32 v14, v3, v10
	v_mul_lo_u32 v15, v3, v10
	v_mul_hi_u32 v9, v1, v12
	v_mul_lo_u32 v8, v1, v12
	v_mul_hi_u32 v10, v1, v10
	v_mov_b32_e32 v11, v2
	v_lshl_add_u64 v[8:9], v[10:11], 0, v[8:9]
	v_add_co_u32_e32 v8, vcc, v8, v15
	v_mul_hi_u32 v13, v3, v12
	s_nop 0
	v_addc_co_u32_e32 v8, vcc, v9, v14, vcc
	v_mul_lo_u32 v10, v3, v12
	s_nop 0
	v_addc_co_u32_e32 v11, vcc, 0, v13, vcc
	v_mov_b32_e32 v9, v2
	v_lshl_add_u64 v[8:9], v[8:9], 0, v[10:11]
	v_add_co_u32_e32 v1, vcc, v1, v8
	v_mul_hi_u32 v10, v6, v1
	s_nop 0
	v_addc_co_u32_e32 v3, vcc, v3, v9, vcc
	v_mad_u64_u32 v[8:9], s[2:3], v6, v3, 0
	v_mov_b32_e32 v11, v2
	v_lshl_add_u64 v[8:9], v[10:11], 0, v[8:9]
	v_mad_u64_u32 v[12:13], s[2:3], v7, v1, 0
	v_add_co_u32_e32 v1, vcc, v8, v12
	v_mad_u64_u32 v[10:11], s[2:3], v7, v3, 0
	s_nop 0
	v_addc_co_u32_e32 v8, vcc, v9, v13, vcc
	v_mov_b32_e32 v9, v2
	s_nop 0
	v_addc_co_u32_e32 v11, vcc, 0, v11, vcc
	v_lshl_add_u64 v[8:9], v[8:9], 0, v[10:11]
	v_mul_lo_u32 v1, s29, v8
	v_mul_lo_u32 v3, s28, v9
	v_mad_u64_u32 v[10:11], s[2:3], s28, v8, 0
	v_add3_u32 v1, v11, v3, v1
	v_sub_u32_e32 v3, v7, v1
	v_mov_b32_e32 v11, s29
	v_sub_co_u32_e32 v14, vcc, v6, v10
	v_lshl_add_u64 v[12:13], v[8:9], 0, 1
	s_nop 0
	v_subb_co_u32_e64 v3, s[2:3], v3, v11, vcc
	v_subrev_co_u32_e64 v10, s[2:3], s28, v14
	v_subb_co_u32_e32 v1, vcc, v7, v1, vcc
	s_nop 0
	v_subbrev_co_u32_e64 v3, s[2:3], 0, v3, s[2:3]
	v_cmp_le_u32_e64 s[2:3], s29, v3
	v_cmp_le_u32_e32 vcc, s29, v1
	s_nop 0
	v_cndmask_b32_e64 v11, 0, -1, s[2:3]
	v_cmp_le_u32_e64 s[2:3], s28, v10
	s_nop 1
	v_cndmask_b32_e64 v10, 0, -1, s[2:3]
	v_cmp_eq_u32_e64 s[2:3], s29, v3
	s_nop 1
	v_cndmask_b32_e64 v3, v11, v10, s[2:3]
	v_lshl_add_u64 v[10:11], v[8:9], 0, 2
	v_cmp_ne_u32_e64 s[2:3], 0, v3
	s_nop 1
	v_cndmask_b32_e64 v3, v13, v11, s[2:3]
	v_cndmask_b32_e64 v11, 0, -1, vcc
	v_cmp_le_u32_e32 vcc, s28, v14
	s_nop 1
	v_cndmask_b32_e64 v13, 0, -1, vcc
	v_cmp_eq_u32_e32 vcc, s29, v1
	s_nop 1
	v_cndmask_b32_e32 v1, v11, v13, vcc
	v_cmp_ne_u32_e32 vcc, 0, v1
	v_cndmask_b32_e64 v1, v12, v10, s[2:3]
	s_nop 0
	v_cndmask_b32_e32 v105, v9, v3, vcc
	v_cndmask_b32_e32 v104, v8, v1, vcc
.LBB0_4:                                ;   in Loop: Header=BB0_2 Depth=1
	s_andn2_saveexec_b64 s[2:3], s[30:31]
	s_cbranch_execz .LBB0_6
; %bb.5:                                ;   in Loop: Header=BB0_2 Depth=1
	v_cvt_f32_u32_e32 v1, s28
	s_sub_i32 s30, 0, s28
	v_mov_b32_e32 v105, v2
	v_rcp_iflag_f32_e32 v1, v1
	s_nop 0
	v_mul_f32_e32 v1, 0x4f7ffffe, v1
	v_cvt_u32_f32_e32 v1, v1
	v_mul_lo_u32 v3, s30, v1
	v_mul_hi_u32 v3, v1, v3
	v_add_u32_e32 v1, v1, v3
	v_mul_hi_u32 v1, v6, v1
	v_mul_lo_u32 v3, v1, s28
	v_sub_u32_e32 v3, v6, v3
	v_add_u32_e32 v8, 1, v1
	v_subrev_u32_e32 v9, s28, v3
	v_cmp_le_u32_e32 vcc, s28, v3
	s_nop 1
	v_cndmask_b32_e32 v3, v3, v9, vcc
	v_cndmask_b32_e32 v1, v1, v8, vcc
	v_add_u32_e32 v8, 1, v1
	v_cmp_le_u32_e32 vcc, s28, v3
	s_nop 1
	v_cndmask_b32_e32 v104, v1, v8, vcc
.LBB0_6:                                ;   in Loop: Header=BB0_2 Depth=1
	s_or_b64 exec, exec, s[2:3]
	v_mad_u64_u32 v[8:9], s[2:3], v104, s28, 0
	s_load_dwordx2 s[2:3], s[22:23], 0x0
	v_mul_lo_u32 v1, v105, s28
	v_mul_lo_u32 v3, v104, s29
	s_load_dwordx2 s[28:29], s[20:21], 0x0
	s_add_u32 s26, s26, 1
	v_add3_u32 v1, v9, v3, v1
	v_sub_co_u32_e32 v3, vcc, v6, v8
	s_addc_u32 s27, s27, 0
	s_nop 0
	v_subb_co_u32_e32 v1, vcc, v7, v1, vcc
	s_add_u32 s20, s20, 8
	s_waitcnt lgkmcnt(0)
	v_mul_lo_u32 v6, s2, v1
	v_mul_lo_u32 v7, s3, v3
	v_mad_u64_u32 v[4:5], s[2:3], s2, v3, v[4:5]
	s_addc_u32 s21, s21, 0
	v_add3_u32 v5, v7, v5, v6
	v_mul_lo_u32 v1, s28, v1
	v_mul_lo_u32 v6, s29, v3
	v_mad_u64_u32 v[120:121], s[2:3], s28, v3, v[120:121]
	s_add_u32 s22, s22, 8
	v_add3_u32 v121, v6, v121, v1
	s_addc_u32 s23, s23, 0
	v_mov_b64_e32 v[6:7], s[10:11]
	s_add_u32 s24, s24, 8
	v_cmp_ge_u64_e32 vcc, s[26:27], v[6:7]
	s_addc_u32 s25, s25, 0
	s_cbranch_vccnz .LBB0_9
; %bb.7:                                ;   in Loop: Header=BB0_2 Depth=1
	v_mov_b64_e32 v[6:7], v[104:105]
	s_branch .LBB0_2
.LBB0_8:
	v_mov_b64_e32 v[120:121], v[4:5]
	v_mov_b64_e32 v[104:105], v[6:7]
.LBB0_9:
	s_load_dwordx2 s[0:1], s[0:1], 0x28
	s_lshl_b64 s[20:21], s[10:11], 3
	s_add_u32 s2, s14, s20
	s_addc_u32 s3, s15, s21
                                        ; implicit-def: $vgpr128
	s_waitcnt lgkmcnt(0)
	v_cmp_gt_u64_e32 vcc, s[0:1], v[104:105]
	v_cmp_le_u64_e64 s[0:1], s[0:1], v[104:105]
	s_and_saveexec_b64 s[10:11], s[0:1]
	s_xor_b64 s[0:1], exec, s[10:11]
; %bb.10:
	s_mov_b32 s10, 0x3f03f04
	v_mul_hi_u32 v1, v0, s10
	v_mul_u32_u24_e32 v1, 0x41, v1
	v_sub_u32_e32 v128, v0, v1
                                        ; implicit-def: $vgpr0
                                        ; implicit-def: $vgpr4_vgpr5
; %bb.11:
	s_or_saveexec_b64 s[10:11], s[0:1]
	s_load_dwordx2 s[2:3], s[2:3], 0x0
                                        ; implicit-def: $vgpr98_vgpr99
                                        ; implicit-def: $vgpr74_vgpr75
                                        ; implicit-def: $vgpr54_vgpr55
                                        ; implicit-def: $vgpr34_vgpr35
                                        ; implicit-def: $vgpr30_vgpr31
                                        ; implicit-def: $vgpr10_vgpr11
                                        ; implicit-def: $vgpr6_vgpr7
                                        ; implicit-def: $vgpr2_vgpr3
                                        ; implicit-def: $vgpr22_vgpr23
                                        ; implicit-def: $vgpr18_vgpr19
                                        ; implicit-def: $vgpr26_vgpr27
                                        ; implicit-def: $vgpr38_vgpr39
                                        ; implicit-def: $vgpr14_vgpr15
                                        ; implicit-def: $vgpr102_vgpr103
                                        ; implicit-def: $vgpr94_vgpr95
                                        ; implicit-def: $vgpr90_vgpr91
                                        ; implicit-def: $vgpr86_vgpr87
                                        ; implicit-def: $vgpr70_vgpr71
                                        ; implicit-def: $vgpr46_vgpr47
                                        ; implicit-def: $vgpr42_vgpr43
                                        ; implicit-def: $vgpr50_vgpr51
                                        ; implicit-def: $vgpr58_vgpr59
                                        ; implicit-def: $vgpr62_vgpr63
                                        ; implicit-def: $vgpr78_vgpr79
                                        ; implicit-def: $vgpr82_vgpr83
                                        ; implicit-def: $vgpr66_vgpr67
	s_xor_b64 exec, exec, s[10:11]
	s_cbranch_execz .LBB0_15
; %bb.12:
	s_add_u32 s0, s12, s20
	s_addc_u32 s1, s13, s21
	s_load_dwordx2 s[0:1], s[0:1], 0x0
	s_mov_b32 s12, 0x3f03f04
                                        ; implicit-def: $vgpr12_vgpr13
                                        ; implicit-def: $vgpr36_vgpr37
                                        ; implicit-def: $vgpr24_vgpr25
                                        ; implicit-def: $vgpr16_vgpr17
                                        ; implicit-def: $vgpr20_vgpr21
                                        ; implicit-def: $vgpr8_vgpr9
                                        ; implicit-def: $vgpr28_vgpr29
                                        ; implicit-def: $vgpr32_vgpr33
                                        ; implicit-def: $vgpr52_vgpr53
                                        ; implicit-def: $vgpr72_vgpr73
                                        ; implicit-def: $vgpr96_vgpr97
	s_waitcnt lgkmcnt(0)
	v_mul_lo_u32 v1, s1, v104
	v_mul_lo_u32 v6, s0, v105
	v_mad_u64_u32 v[2:3], s[0:1], s0, v104, 0
	v_add3_u32 v3, v3, v6, v1
	v_mul_hi_u32 v1, v0, s12
	v_mul_u32_u24_e32 v1, 0x41, v1
	v_sub_u32_e32 v128, v0, v1
	v_lshl_add_u64 v[2:3], v[2:3], 4, s[4:5]
	v_lshl_add_u64 v[98:99], v[4:5], 4, v[2:3]
	v_add_u32_e32 v5, 0x7d, v128
	v_mad_u64_u32 v[0:1], s[0:1], s18, v128, 0
	v_mad_u64_u32 v[2:3], s[0:1], s18, v5, 0
	v_mov_b32_e32 v6, v1
	v_mov_b32_e32 v4, v3
	v_mad_u64_u32 v[6:7], s[0:1], s19, v128, v[6:7]
	v_mad_u64_u32 v[4:5], s[0:1], s19, v5, v[4:5]
	v_mov_b32_e32 v1, v6
	v_mov_b32_e32 v3, v4
	v_lshl_add_u64 v[0:1], v[0:1], 4, v[98:99]
	v_lshl_add_u64 v[2:3], v[2:3], 4, v[98:99]
	global_load_dwordx4 v[64:67], v[0:1], off
	global_load_dwordx4 v[80:83], v[2:3], off
	v_add_u32_e32 v3, 0xfa, v128
	v_mad_u64_u32 v[0:1], s[0:1], s18, v3, 0
	v_mov_b32_e32 v2, v1
	v_mad_u64_u32 v[2:3], s[0:1], s19, v3, v[2:3]
	v_add_u32_e32 v5, 0x177, v128
	v_mov_b32_e32 v1, v2
	v_mad_u64_u32 v[2:3], s[0:1], s18, v5, 0
	v_mov_b32_e32 v4, v3
	v_mad_u64_u32 v[4:5], s[0:1], s19, v5, v[4:5]
	v_mov_b32_e32 v3, v4
	v_lshl_add_u64 v[0:1], v[0:1], 4, v[98:99]
	v_lshl_add_u64 v[2:3], v[2:3], 4, v[98:99]
	global_load_dwordx4 v[76:79], v[0:1], off
	global_load_dwordx4 v[60:63], v[2:3], off
	v_add_u32_e32 v3, 0x1f4, v128
	v_mad_u64_u32 v[0:1], s[0:1], s18, v3, 0
	v_mov_b32_e32 v2, v1
	v_mad_u64_u32 v[2:3], s[0:1], s19, v3, v[2:3]
	v_add_u32_e32 v5, 0x271, v128
	v_mov_b32_e32 v1, v2
	v_mad_u64_u32 v[2:3], s[0:1], s18, v5, 0
	v_mov_b32_e32 v4, v3
	v_mad_u64_u32 v[4:5], s[0:1], s19, v5, v[4:5]
	;; [unrolled: 14-line block ×5, first 2 shown]
	v_mov_b32_e32 v3, v4
	v_lshl_add_u64 v[0:1], v[0:1], 4, v[98:99]
	v_lshl_add_u64 v[2:3], v[2:3], 4, v[98:99]
	global_load_dwordx4 v[88:91], v[0:1], off
	global_load_dwordx4 v[92:95], v[2:3], off
	v_add_u32_e32 v3, 0x5dc, v128
	v_mad_u64_u32 v[0:1], s[0:1], s18, v3, 0
	v_mov_b32_e32 v2, v1
	v_mad_u64_u32 v[2:3], s[0:1], s19, v3, v[2:3]
	v_mov_b32_e32 v1, v2
	v_lshl_add_u64 v[0:1], v[0:1], 4, v[98:99]
	global_load_dwordx4 v[100:103], v[0:1], off
	v_cmp_gt_u32_e64 s[0:1], 60, v128
                                        ; implicit-def: $vgpr0_vgpr1
                                        ; implicit-def: $vgpr4_vgpr5
	s_and_saveexec_b64 s[4:5], s[0:1]
	s_cbranch_execz .LBB0_14
; %bb.13:
	v_add_u32_e32 v3, 0x41, v128
	v_mad_u64_u32 v[0:1], s[0:1], s18, v3, 0
	v_mov_b32_e32 v2, v1
	v_mad_u64_u32 v[2:3], s[0:1], s19, v3, v[2:3]
	v_add_u32_e32 v5, 0xbe, v128
	v_mov_b32_e32 v1, v2
	v_mad_u64_u32 v[2:3], s[0:1], s18, v5, 0
	v_mov_b32_e32 v4, v3
	v_mad_u64_u32 v[4:5], s[0:1], s19, v5, v[4:5]
	v_mov_b32_e32 v3, v4
	v_lshl_add_u64 v[0:1], v[0:1], 4, v[98:99]
	v_lshl_add_u64 v[2:3], v[2:3], 4, v[98:99]
	global_load_dwordx4 v[12:15], v[0:1], off
	global_load_dwordx4 v[36:39], v[2:3], off
	v_add_u32_e32 v3, 0x13b, v128
	v_mad_u64_u32 v[0:1], s[0:1], s18, v3, 0
	v_mov_b32_e32 v2, v1
	v_mad_u64_u32 v[2:3], s[0:1], s19, v3, v[2:3]
	v_add_u32_e32 v5, 0x1b8, v128
	v_mov_b32_e32 v1, v2
	v_mad_u64_u32 v[2:3], s[0:1], s18, v5, 0
	v_mov_b32_e32 v4, v3
	v_mad_u64_u32 v[4:5], s[0:1], s19, v5, v[4:5]
	v_mov_b32_e32 v3, v4
	v_lshl_add_u64 v[0:1], v[0:1], 4, v[98:99]
	v_lshl_add_u64 v[2:3], v[2:3], 4, v[98:99]
	global_load_dwordx4 v[24:27], v[0:1], off
	global_load_dwordx4 v[16:19], v[2:3], off
	v_add_u32_e32 v3, 0x235, v128
	v_mad_u64_u32 v[0:1], s[0:1], s18, v3, 0
	v_mov_b32_e32 v2, v1
	v_mad_u64_u32 v[2:3], s[0:1], s19, v3, v[2:3]
	v_mov_b32_e32 v1, v2
	v_add_u32_e32 v3, 0x2b2, v128
	v_lshl_add_u64 v[4:5], v[0:1], 4, v[98:99]
	v_mad_u64_u32 v[0:1], s[0:1], s18, v3, 0
	v_mov_b32_e32 v2, v1
	v_mad_u64_u32 v[2:3], s[0:1], s19, v3, v[2:3]
	v_mov_b32_e32 v1, v2
	v_lshl_add_u64 v[6:7], v[0:1], 4, v[98:99]
	global_load_dwordx4 v[20:23], v[4:5], off
	global_load_dwordx4 v[0:3], v[6:7], off
	v_add_u32_e32 v7, 0x32f, v128
	v_mad_u64_u32 v[4:5], s[0:1], s18, v7, 0
	v_mov_b32_e32 v6, v5
	v_mad_u64_u32 v[6:7], s[0:1], s19, v7, v[6:7]
	v_mov_b32_e32 v5, v6
	v_add_u32_e32 v7, 0x3ac, v128
	v_lshl_add_u64 v[28:29], v[4:5], 4, v[98:99]
	v_mad_u64_u32 v[4:5], s[0:1], s18, v7, 0
	v_mov_b32_e32 v6, v5
	v_mad_u64_u32 v[6:7], s[0:1], s19, v7, v[6:7]
	v_mov_b32_e32 v5, v6
	;; [unrolled: 14-line block ×4, first 2 shown]
	v_add_u32_e32 v107, 0x61d, v128
	v_lshl_add_u64 v[108:109], v[52:53], 4, v[98:99]
	global_load_dwordx4 v[52:55], v[96:97], off
	global_load_dwordx4 v[72:75], v[108:109], off
	v_mad_u64_u32 v[96:97], s[0:1], s18, v107, 0
	v_mov_b32_e32 v108, v97
	v_mad_u64_u32 v[108:109], s[0:1], s19, v107, v[108:109]
	v_mov_b32_e32 v97, v108
	v_lshl_add_u64 v[96:97], v[96:97], 4, v[98:99]
	global_load_dwordx4 v[96:99], v[96:97], off
.LBB0_14:
	s_or_b64 exec, exec, s[4:5]
.LBB0_15:
	s_or_b64 exec, exec, s[10:11]
	s_mov_b32 s4, 0xe00740e9
	s_mov_b32 s10, 0x1ea71119
	;; [unrolled: 1-line block ×6, first 2 shown]
	s_waitcnt vmcnt(0)
	v_add_f64 v[110:111], v[100:101], v[80:81]
	s_mov_b32 s5, 0x3fec55a7
	s_mov_b32 s14, 0x4267c47c
	;; [unrolled: 1-line block ×12, first 2 shown]
	v_and_b32_e32 v106, 1, v106
	v_add_f64 v[112:113], v[82:83], -v[102:103]
	v_mul_f64 v[114:115], v[110:111], s[4:5]
	s_mov_b32 s15, 0x3fddbe06
	s_mov_b32 s47, 0xbfddbe06
	s_mov_b32 s46, s14
	v_mul_f64 v[118:119], v[110:111], s[10:11]
	s_mov_b32 s19, 0x3fea55e2
	s_mov_b32 s27, 0xbfea55e2
	s_mov_b32 s26, s18
	;; [unrolled: 4-line block ×6, first 2 shown]
	v_mov_b32_e32 v107, 0x659
	v_cmp_eq_u32_e64 s[0:1], 1, v106
	v_fma_f64 v[116:117], s[14:15], v[112:113], v[114:115]
	v_fmac_f64_e32 v[114:115], s[46:47], v[112:113]
	v_fma_f64 v[122:123], s[18:19], v[112:113], v[118:119]
	v_fmac_f64_e32 v[118:119], s[26:27], v[112:113]
	;; [unrolled: 2-line block ×6, first 2 shown]
	v_cndmask_b32_e64 v108, 0, v107, s[0:1]
	v_add_f64 v[106:107], v[80:81], v[64:65]
	v_add_f64 v[116:117], v[64:65], v[116:117]
	;; [unrolled: 1-line block ×14, first 2 shown]
	v_add_f64 v[112:113], v[78:79], -v[94:95]
	v_mul_f64 v[140:141], v[110:111], s[10:11]
	v_fma_f64 v[142:143], s[18:19], v[112:113], v[140:141]
	v_fmac_f64_e32 v[140:141], s[26:27], v[112:113]
	v_add_f64 v[114:115], v[140:141], v[114:115]
	v_mul_f64 v[140:141], v[110:111], s[22:23]
	v_add_f64 v[116:117], v[142:143], v[116:117]
	v_fma_f64 v[142:143], s[44:45], v[112:113], v[140:141]
	v_fmac_f64_e32 v[140:141], s[24:25], v[112:113]
	v_add_f64 v[118:119], v[140:141], v[118:119]
	v_mul_f64 v[140:141], v[110:111], s[34:35]
	v_add_f64 v[122:123], v[142:143], v[122:123]
	v_fma_f64 v[142:143], s[40:41], v[112:113], v[140:141]
	v_fmac_f64_e32 v[140:141], s[38:39], v[112:113]
	v_add_f64 v[124:125], v[140:141], v[124:125]
	v_mul_f64 v[140:141], v[110:111], s[28:29]
	v_add_f64 v[126:127], v[142:143], v[126:127]
	v_fma_f64 v[142:143], s[30:31], v[112:113], v[140:141]
	v_fmac_f64_e32 v[140:141], s[42:43], v[112:113]
	v_add_f64 v[130:131], v[140:141], v[130:131]
	v_mul_f64 v[140:141], v[110:111], s[12:13]
	v_add_f64 v[132:133], v[142:143], v[132:133]
	v_fma_f64 v[142:143], s[36:37], v[112:113], v[140:141]
	v_fmac_f64_e32 v[140:141], s[20:21], v[112:113]
	v_mul_f64 v[110:111], v[110:111], s[4:5]
	v_add_f64 v[134:135], v[140:141], v[134:135]
	v_fma_f64 v[140:141], s[46:47], v[112:113], v[110:111]
	v_fmac_f64_e32 v[110:111], s[14:15], v[112:113]
	v_add_f64 v[64:65], v[110:111], v[64:65]
	v_add_f64 v[110:111], v[88:89], v[60:61]
	v_add_f64 v[138:139], v[140:141], v[138:139]
	v_add_f64 v[112:113], v[62:63], -v[90:91]
	v_mul_f64 v[140:141], v[110:111], s[12:13]
	v_add_f64 v[136:137], v[142:143], v[136:137]
	v_fma_f64 v[142:143], s[20:21], v[112:113], v[140:141]
	v_fmac_f64_e32 v[140:141], s[36:37], v[112:113]
	v_add_f64 v[114:115], v[140:141], v[114:115]
	v_mul_f64 v[140:141], v[110:111], s[34:35]
	v_add_f64 v[116:117], v[142:143], v[116:117]
	v_fma_f64 v[142:143], s[40:41], v[112:113], v[140:141]
	v_fmac_f64_e32 v[140:141], s[38:39], v[112:113]
	v_add_f64 v[118:119], v[140:141], v[118:119]
	v_mul_f64 v[140:141], v[110:111], s[22:23]
	v_add_f64 v[122:123], v[142:143], v[122:123]
	v_fma_f64 v[142:143], s[24:25], v[112:113], v[140:141]
	v_fmac_f64_e32 v[140:141], s[44:45], v[112:113]
	v_add_f64 v[124:125], v[140:141], v[124:125]
	v_mul_f64 v[140:141], v[110:111], s[4:5]
	v_add_f64 v[126:127], v[142:143], v[126:127]
	v_fma_f64 v[142:143], s[46:47], v[112:113], v[140:141]
	v_fmac_f64_e32 v[140:141], s[14:15], v[112:113]
	v_add_f64 v[130:131], v[140:141], v[130:131]
	v_mul_f64 v[140:141], v[110:111], s[10:11]
	v_add_f64 v[132:133], v[142:143], v[132:133]
	v_fma_f64 v[142:143], s[18:19], v[112:113], v[140:141]
	v_fmac_f64_e32 v[140:141], s[26:27], v[112:113]
	v_mul_f64 v[110:111], v[110:111], s[28:29]
	v_add_f64 v[134:135], v[140:141], v[134:135]
	v_fma_f64 v[140:141], s[42:43], v[112:113], v[110:111]
	v_fmac_f64_e32 v[110:111], s[30:31], v[112:113]
	v_add_f64 v[64:65], v[110:111], v[64:65]
	v_add_f64 v[110:111], v[84:85], v[56:57]
	v_add_f64 v[138:139], v[140:141], v[138:139]
	v_add_f64 v[112:113], v[58:59], -v[86:87]
	v_mul_f64 v[140:141], v[110:111], s[22:23]
	v_add_f64 v[136:137], v[142:143], v[136:137]
	;; [unrolled: 32-line block ×3, first 2 shown]
	v_fma_f64 v[142:143], s[42:43], v[112:113], v[140:141]
	v_fmac_f64_e32 v[140:141], s[30:31], v[112:113]
	v_add_f64 v[114:115], v[140:141], v[114:115]
	v_mul_f64 v[140:141], v[110:111], s[12:13]
	v_add_f64 v[116:117], v[142:143], v[116:117]
	v_fma_f64 v[142:143], s[36:37], v[112:113], v[140:141]
	v_fmac_f64_e32 v[140:141], s[20:21], v[112:113]
	v_add_f64 v[118:119], v[140:141], v[118:119]
	v_mul_f64 v[140:141], v[110:111], s[10:11]
	v_add_f64 v[122:123], v[142:143], v[122:123]
	;; [unrolled: 5-line block ×4, first 2 shown]
	v_fma_f64 v[142:143], s[46:47], v[112:113], v[140:141]
	v_fmac_f64_e32 v[140:141], s[14:15], v[112:113]
	v_mul_f64 v[110:111], v[110:111], s[22:23]
	v_add_f64 v[134:135], v[140:141], v[134:135]
	v_fma_f64 v[140:141], s[44:45], v[112:113], v[110:111]
	v_fmac_f64_e32 v[110:111], s[24:25], v[112:113]
	v_add_f64 v[64:65], v[110:111], v[64:65]
	v_add_f64 v[110:111], v[44:45], v[40:41]
	;; [unrolled: 1-line block ×4, first 2 shown]
	v_add_f64 v[112:113], v[42:43], -v[46:47]
	v_mul_f64 v[140:141], v[110:111], s[34:35]
	v_add_f64 v[106:107], v[60:61], v[106:107]
	v_add_f64 v[136:137], v[142:143], v[136:137]
	v_fma_f64 v[142:143], s[40:41], v[112:113], v[140:141]
	v_fmac_f64_e32 v[140:141], s[38:39], v[112:113]
	v_add_f64 v[106:107], v[56:57], v[106:107]
	v_add_f64 v[114:115], v[140:141], v[114:115]
	v_mul_f64 v[140:141], v[110:111], s[4:5]
	v_add_f64 v[106:107], v[48:49], v[106:107]
	v_add_f64 v[116:117], v[142:143], v[116:117]
	v_fma_f64 v[142:143], s[46:47], v[112:113], v[140:141]
	v_fmac_f64_e32 v[140:141], s[14:15], v[112:113]
	v_add_f64 v[106:107], v[40:41], v[106:107]
	v_add_f64 v[118:119], v[140:141], v[118:119]
	;; [unrolled: 7-line block ×4, first 2 shown]
	v_mul_f64 v[140:141], v[110:111], s[22:23]
	s_movk_i32 s0, 0x68
	v_add_f64 v[106:107], v[92:93], v[106:107]
	v_add_f64 v[132:133], v[142:143], v[132:133]
	v_fma_f64 v[142:143], s[44:45], v[112:113], v[140:141]
	v_fmac_f64_e32 v[140:141], s[24:25], v[112:113]
	v_mul_f64 v[110:111], v[110:111], s[12:13]
	v_mad_u32_u24 v109, v128, s0, 0
	v_add_f64 v[106:107], v[100:101], v[106:107]
	v_add_f64 v[134:135], v[140:141], v[134:135]
	v_fma_f64 v[140:141], s[36:37], v[112:113], v[110:111]
	v_fmac_f64_e32 v[110:111], s[20:21], v[112:113]
	v_lshl_add_u32 v109, v108, 3, v109
	v_cmp_gt_u32_e64 s[0:1], 60, v128
	v_add_f64 v[136:137], v[142:143], v[136:137]
	v_add_f64 v[138:139], v[140:141], v[138:139]
	;; [unrolled: 1-line block ×3, first 2 shown]
	ds_write2_b64 v109, v[106:107], v[116:117] offset1:1
	ds_write2_b64 v109, v[122:123], v[126:127] offset0:2 offset1:3
	ds_write2_b64 v109, v[132:133], v[136:137] offset0:4 offset1:5
	;; [unrolled: 1-line block ×5, first 2 shown]
	ds_write_b64 v109, v[114:115] offset:96
	s_and_saveexec_b64 s[48:49], s[0:1]
	s_cbranch_execz .LBB0_17
; %bb.16:
	v_add_f64 v[152:153], v[38:39], -v[98:99]
	v_add_f64 v[144:145], v[26:27], -v[74:75]
	v_add_f64 v[150:151], v[96:97], v[36:37]
	v_mul_f64 v[154:155], v[152:153], s[38:39]
	v_add_f64 v[136:137], v[18:19], -v[54:55]
	v_add_f64 v[142:143], v[72:73], v[24:25]
	v_mul_f64 v[146:147], v[144:145], s[14:15]
	v_fma_f64 v[156:157], s[34:35], v[150:151], v[154:155]
	v_add_f64 v[126:127], v[22:23], -v[34:35]
	v_add_f64 v[134:135], v[52:53], v[16:17]
	v_mul_f64 v[138:139], v[136:137], s[30:31]
	v_fma_f64 v[148:149], s[4:5], v[142:143], v[146:147]
	v_add_f64 v[156:157], v[12:13], v[156:157]
	v_add_f64 v[116:117], v[2:3], -v[30:31]
	v_add_f64 v[124:125], v[32:33], v[20:21]
	v_mul_f64 v[130:131], v[126:127], s[18:19]
	v_fma_f64 v[140:141], s[28:29], v[134:135], v[138:139]
	v_add_f64 v[148:149], v[148:149], v[156:157]
	;; [unrolled: 5-line block ×3, first 2 shown]
	v_add_f64 v[64:65], v[8:9], v[4:5]
	v_mul_f64 v[110:111], v[106:107], s[20:21]
	v_fma_f64 v[122:123], s[22:23], v[114:115], v[118:119]
	v_add_f64 v[132:133], v[132:133], v[140:141]
	v_fma_f64 v[112:113], s[12:13], v[64:65], v[110:111]
	v_add_f64 v[122:123], v[122:123], v[132:133]
	v_add_f64 v[112:113], v[112:113], v[122:123]
	v_fma_f64 v[122:123], v[124:125], s[10:11], -v[130:131]
	v_fma_f64 v[130:131], v[134:135], s[28:29], -v[138:139]
	v_fma_f64 v[138:139], v[150:151], s[34:35], -v[154:155]
	v_fma_f64 v[132:133], v[142:143], s[4:5], -v[146:147]
	v_add_f64 v[138:139], v[12:13], v[138:139]
	v_mul_f64 v[158:159], v[152:153], s[30:31]
	v_add_f64 v[132:133], v[132:133], v[138:139]
	v_mul_f64 v[154:155], v[144:145], s[20:21]
	v_fma_f64 v[160:161], s[28:29], v[150:151], v[158:159]
	v_add_f64 v[130:131], v[130:131], v[132:133]
	v_mul_f64 v[146:147], v[136:137], s[26:27]
	v_fma_f64 v[156:157], s[12:13], v[142:143], v[154:155]
	v_add_f64 v[160:161], v[12:13], v[160:161]
	v_fma_f64 v[118:119], v[114:115], s[22:23], -v[118:119]
	v_add_f64 v[122:123], v[122:123], v[130:131]
	v_mul_f64 v[138:139], v[126:127], s[40:41]
	v_fma_f64 v[148:149], s[10:11], v[134:135], v[146:147]
	v_add_f64 v[156:157], v[156:157], v[160:161]
	v_fma_f64 v[110:111], v[64:65], s[12:13], -v[110:111]
	v_add_f64 v[118:119], v[118:119], v[122:123]
	v_mul_f64 v[130:131], v[116:117], s[14:15]
	v_fma_f64 v[140:141], s[34:35], v[124:125], v[138:139]
	v_add_f64 v[148:149], v[148:149], v[156:157]
	v_add_f64 v[110:111], v[110:111], v[118:119]
	v_mul_f64 v[118:119], v[106:107], s[24:25]
	v_fma_f64 v[132:133], s[4:5], v[114:115], v[130:131]
	v_add_f64 v[140:141], v[140:141], v[148:149]
	v_fma_f64 v[122:123], s[22:23], v[64:65], v[118:119]
	v_add_f64 v[132:133], v[132:133], v[140:141]
	v_add_f64 v[122:123], v[122:123], v[132:133]
	v_fma_f64 v[132:133], v[124:125], s[34:35], -v[138:139]
	v_fma_f64 v[138:139], v[134:135], s[10:11], -v[146:147]
	v_fma_f64 v[146:147], v[150:151], s[28:29], -v[158:159]
	v_fma_f64 v[140:141], v[142:143], s[12:13], -v[154:155]
	v_add_f64 v[146:147], v[12:13], v[146:147]
	v_mul_f64 v[162:163], v[152:153], s[24:25]
	v_add_f64 v[140:141], v[140:141], v[146:147]
	v_mul_f64 v[158:159], v[144:145], s[42:43]
	v_fma_f64 v[164:165], s[22:23], v[150:151], v[162:163]
	v_add_f64 v[138:139], v[138:139], v[140:141]
	v_mul_f64 v[154:155], v[136:137], s[14:15]
	v_fma_f64 v[160:161], s[28:29], v[142:143], v[158:159]
	v_add_f64 v[164:165], v[12:13], v[164:165]
	v_fma_f64 v[130:131], v[114:115], s[4:5], -v[130:131]
	v_add_f64 v[132:133], v[132:133], v[138:139]
	v_mul_f64 v[146:147], v[126:127], s[36:37]
	v_fma_f64 v[156:157], s[4:5], v[134:135], v[154:155]
	v_add_f64 v[160:161], v[160:161], v[164:165]
	v_fma_f64 v[118:119], v[64:65], s[22:23], -v[118:119]
	v_add_f64 v[130:131], v[130:131], v[132:133]
	v_mul_f64 v[138:139], v[116:117], s[40:41]
	v_fma_f64 v[148:149], s[12:13], v[124:125], v[146:147]
	v_add_f64 v[156:157], v[156:157], v[160:161]
	;; [unrolled: 30-line block ×4, first 2 shown]
	v_add_f64 v[138:139], v[138:139], v[146:147]
	v_mul_f64 v[146:147], v[106:107], s[14:15]
	v_fma_f64 v[156:157], s[12:13], v[114:115], v[154:155]
	v_add_f64 v[160:161], v[160:161], v[164:165]
	v_fma_f64 v[148:149], s[4:5], v[64:65], v[146:147]
	v_add_f64 v[156:157], v[156:157], v[160:161]
	v_add_f64 v[148:149], v[148:149], v[156:157]
	v_fma_f64 v[156:157], v[124:125], s[28:29], -v[158:159]
	v_fma_f64 v[158:159], v[134:135], s[34:35], -v[162:163]
	;; [unrolled: 1-line block ×4, first 2 shown]
	v_add_f64 v[162:163], v[12:13], v[162:163]
	v_add_f64 v[160:161], v[160:161], v[162:163]
	;; [unrolled: 1-line block ×3, first 2 shown]
	v_fma_f64 v[154:155], v[114:115], s[12:13], -v[154:155]
	v_add_f64 v[156:157], v[156:157], v[158:159]
	v_fma_f64 v[146:147], v[64:65], s[4:5], -v[146:147]
	v_add_f64 v[154:155], v[154:155], v[156:157]
	v_mul_f64 v[106:107], v[106:107], s[38:39]
	v_mul_f64 v[116:117], v[116:117], s[30:31]
	;; [unrolled: 1-line block ×4, first 2 shown]
	v_add_f64 v[146:147], v[146:147], v[154:155]
	v_fma_f64 v[154:155], s[34:35], v[64:65], v[106:107]
	v_fma_f64 v[156:157], s[28:29], v[114:115], v[116:117]
	;; [unrolled: 1-line block ×4, first 2 shown]
	v_fma_f64 v[64:65], v[64:65], s[34:35], -v[106:107]
	v_fma_f64 v[106:107], v[114:115], s[28:29], -v[116:117]
	;; [unrolled: 1-line block ×4, first 2 shown]
	v_add_f64 v[164:165], v[12:13], v[164:165]
	v_add_f64 v[126:127], v[12:13], v[126:127]
	;; [unrolled: 1-line block ×7, first 2 shown]
	v_mul_f64 v[144:145], v[144:145], s[26:27]
	v_add_f64 v[12:13], v[4:5], v[12:13]
	v_mul_f64 v[136:137], v[136:137], s[36:37]
	v_fma_f64 v[124:125], v[142:143], s[10:11], -v[144:145]
	v_add_f64 v[12:13], v[8:9], v[12:13]
	v_fma_f64 v[116:117], v[134:135], s[12:13], -v[136:137]
	v_add_f64 v[124:125], v[124:125], v[126:127]
	v_add_f64 v[12:13], v[28:29], v[12:13]
	v_add_f64 v[116:117], v[116:117], v[124:125]
	v_add_f64 v[12:13], v[32:33], v[12:13]
	v_add_f64 v[114:115], v[114:115], v[116:117]
	v_add_f64 v[12:13], v[52:53], v[12:13]
	v_add_f64 v[106:107], v[106:107], v[114:115]
	v_add_f64 v[12:13], v[72:73], v[12:13]
	v_add_f64 v[64:65], v[64:65], v[106:107]
	v_add_f64 v[12:13], v[96:97], v[12:13]
	v_add_u32_e32 v106, 0x1a68, v109
	v_fma_f64 v[162:163], s[10:11], v[142:143], v[144:145]
	ds_write2_b64 v106, v[12:13], v[64:65] offset1:1
	v_add_u32_e32 v12, 0x1a78, v109
	v_fma_f64 v[160:161], s[12:13], v[134:135], v[136:137]
	v_add_f64 v[162:163], v[162:163], v[164:165]
	ds_write2_b64 v12, v[146:147], v[138:139] offset1:1
	v_add_u32_e32 v12, 0x1a88, v109
	v_add_f64 v[160:161], v[160:161], v[162:163]
	ds_write2_b64 v12, v[130:131], v[118:119] offset1:1
	v_add_u32_e32 v12, 0x1a98, v109
	;; [unrolled: 3-line block ×4, first 2 shown]
	v_add_f64 v[154:155], v[154:155], v[156:157]
	ds_write2_b64 v12, v[140:141], v[148:149] offset1:1
	ds_write_b64 v109, v[154:155] offset:6856
.LBB0_17:
	s_or_b64 exec, exec, s[48:49]
	v_add_f64 v[12:13], v[82:83], v[66:67]
	v_add_f64 v[12:13], v[78:79], v[12:13]
	;; [unrolled: 1-line block ×11, first 2 shown]
	v_add_f64 v[80:81], v[80:81], -v[100:101]
	v_add_f64 v[12:13], v[102:103], v[12:13]
	v_add_f64 v[64:65], v[102:103], v[82:83]
	v_mul_f64 v[82:83], v[80:81], s[46:47]
	v_mul_f64 v[102:103], v[80:81], s[26:27]
	;; [unrolled: 1-line block ×6, first 2 shown]
	v_fma_f64 v[100:101], s[4:5], v[64:65], v[82:83]
	v_fma_f64 v[82:83], v[64:65], s[4:5], -v[82:83]
	v_fma_f64 v[106:107], s[10:11], v[64:65], v[102:103]
	v_fma_f64 v[102:103], v[64:65], s[10:11], -v[102:103]
	;; [unrolled: 2-line block ×6, first 2 shown]
	v_add_f64 v[76:77], v[76:77], -v[92:93]
	v_add_f64 v[100:101], v[66:67], v[100:101]
	v_add_f64 v[82:83], v[66:67], v[82:83]
	;; [unrolled: 1-line block ×13, first 2 shown]
	v_mul_f64 v[78:79], v[76:77], s[26:27]
	v_fma_f64 v[80:81], s[10:11], v[66:67], v[78:79]
	v_fma_f64 v[78:79], v[66:67], s[10:11], -v[78:79]
	v_add_f64 v[78:79], v[78:79], v[82:83]
	v_mul_f64 v[82:83], v[76:77], s[24:25]
	v_fma_f64 v[92:93], s[22:23], v[66:67], v[82:83]
	v_fma_f64 v[82:83], v[66:67], s[22:23], -v[82:83]
	v_mul_f64 v[94:95], v[76:77], s[38:39]
	v_add_f64 v[80:81], v[80:81], v[100:101]
	v_add_f64 v[82:83], v[82:83], v[102:103]
	v_fma_f64 v[100:101], s[34:35], v[66:67], v[94:95]
	v_fma_f64 v[94:95], v[66:67], s[34:35], -v[94:95]
	v_mul_f64 v[102:103], v[76:77], s[42:43]
	v_add_f64 v[92:93], v[92:93], v[106:107]
	v_add_f64 v[94:95], v[94:95], v[110:111]
	v_fma_f64 v[106:107], s[28:29], v[66:67], v[102:103]
	v_fma_f64 v[102:103], v[66:67], s[28:29], -v[102:103]
	v_mul_f64 v[110:111], v[76:77], s[20:21]
	v_mul_f64 v[76:77], v[76:77], s[14:15]
	v_add_f64 v[100:101], v[100:101], v[112:113]
	v_add_f64 v[102:103], v[102:103], v[114:115]
	v_fma_f64 v[112:113], s[12:13], v[66:67], v[110:111]
	v_fma_f64 v[110:111], v[66:67], s[12:13], -v[110:111]
	v_fma_f64 v[114:115], s[4:5], v[66:67], v[76:77]
	v_fma_f64 v[66:67], v[66:67], s[4:5], -v[76:77]
	v_add_f64 v[60:61], v[60:61], -v[88:89]
	v_add_f64 v[64:65], v[66:67], v[64:65]
	v_add_f64 v[62:63], v[90:91], v[62:63]
	v_mul_f64 v[66:67], v[60:61], s[36:37]
	v_fma_f64 v[76:77], s[12:13], v[62:63], v[66:67]
	v_fma_f64 v[66:67], v[62:63], s[12:13], -v[66:67]
	v_add_f64 v[66:67], v[66:67], v[78:79]
	v_mul_f64 v[78:79], v[60:61], s[38:39]
	v_add_f64 v[76:77], v[76:77], v[80:81]
	v_fma_f64 v[80:81], s[34:35], v[62:63], v[78:79]
	v_fma_f64 v[78:79], v[62:63], s[34:35], -v[78:79]
	v_add_f64 v[78:79], v[78:79], v[82:83]
	v_mul_f64 v[82:83], v[60:61], s[44:45]
	v_fma_f64 v[88:89], s[22:23], v[62:63], v[82:83]
	v_fma_f64 v[82:83], v[62:63], s[22:23], -v[82:83]
	v_mul_f64 v[90:91], v[60:61], s[14:15]
	v_add_f64 v[80:81], v[80:81], v[92:93]
	v_add_f64 v[82:83], v[82:83], v[94:95]
	v_fma_f64 v[92:93], s[4:5], v[62:63], v[90:91]
	v_fma_f64 v[90:91], v[62:63], s[4:5], -v[90:91]
	v_mul_f64 v[94:95], v[60:61], s[26:27]
	v_mul_f64 v[60:61], v[60:61], s[30:31]
	v_add_f64 v[56:57], v[56:57], -v[84:85]
	v_add_f64 v[88:89], v[88:89], v[100:101]
	v_add_f64 v[90:91], v[90:91], v[102:103]
	v_fma_f64 v[100:101], s[10:11], v[62:63], v[94:95]
	v_fma_f64 v[94:95], v[62:63], s[10:11], -v[94:95]
	v_fma_f64 v[102:103], s[28:29], v[62:63], v[60:61]
	v_fma_f64 v[60:61], v[62:63], s[28:29], -v[60:61]
	v_add_f64 v[58:59], v[86:87], v[58:59]
	v_mul_f64 v[62:63], v[56:57], s[24:25]
	v_add_f64 v[60:61], v[60:61], v[64:65]
	v_fma_f64 v[64:65], s[22:23], v[58:59], v[62:63]
	v_fma_f64 v[62:63], v[58:59], s[22:23], -v[62:63]
	v_add_f64 v[62:63], v[62:63], v[66:67]
	v_mul_f64 v[66:67], v[56:57], s[42:43]
	v_add_f64 v[64:65], v[64:65], v[76:77]
	;; [unrolled: 5-line block ×3, first 2 shown]
	v_fma_f64 v[80:81], s[4:5], v[58:59], v[78:79]
	v_fma_f64 v[78:79], v[58:59], s[4:5], -v[78:79]
	v_add_f64 v[78:79], v[78:79], v[82:83]
	v_mul_f64 v[82:83], v[56:57], s[36:37]
	v_fma_f64 v[84:85], s[12:13], v[58:59], v[82:83]
	v_fma_f64 v[82:83], v[58:59], s[12:13], -v[82:83]
	v_mul_f64 v[86:87], v[56:57], s[40:41]
	v_mul_f64 v[56:57], v[56:57], s[18:19]
	v_add_f64 v[48:49], v[48:49], -v[68:69]
	v_add_f64 v[80:81], v[80:81], v[88:89]
	v_add_f64 v[82:83], v[82:83], v[90:91]
	v_fma_f64 v[88:89], s[34:35], v[58:59], v[86:87]
	v_fma_f64 v[86:87], v[58:59], s[34:35], -v[86:87]
	v_fma_f64 v[90:91], s[10:11], v[58:59], v[56:57]
	v_fma_f64 v[56:57], v[58:59], s[10:11], -v[56:57]
	v_add_f64 v[50:51], v[70:71], v[50:51]
	v_mul_f64 v[58:59], v[48:49], s[30:31]
	v_add_f64 v[40:41], v[40:41], -v[44:45]
	v_add_f64 v[56:57], v[56:57], v[60:61]
	v_fma_f64 v[60:61], s[28:29], v[50:51], v[58:59]
	v_fma_f64 v[58:59], v[50:51], s[28:29], -v[58:59]
	v_add_f64 v[42:43], v[46:47], v[42:43]
	v_mul_f64 v[44:45], v[40:41], s[38:39]
	v_add_f64 v[114:115], v[114:115], v[124:125]
	v_add_f64 v[58:59], v[58:59], v[62:63]
	v_mul_f64 v[62:63], v[48:49], s[20:21]
	v_fma_f64 v[46:47], s[34:35], v[42:43], v[44:45]
	v_fma_f64 v[44:45], v[42:43], s[34:35], -v[44:45]
	v_add_f64 v[112:113], v[112:113], v[122:123]
	v_add_f64 v[102:103], v[102:103], v[114:115]
	;; [unrolled: 1-line block ×3, first 2 shown]
	v_fma_f64 v[64:65], s[12:13], v[50:51], v[62:63]
	v_fma_f64 v[62:63], v[50:51], s[12:13], -v[62:63]
	v_add_f64 v[122:123], v[44:45], v[58:59]
	v_mul_f64 v[44:45], v[40:41], s[14:15]
	v_add_f64 v[90:91], v[90:91], v[102:103]
	v_add_f64 v[62:63], v[62:63], v[66:67]
	v_mul_f64 v[66:67], v[48:49], s[26:27]
	v_add_f64 v[102:103], v[46:47], v[60:61]
	v_fma_f64 v[46:47], s[4:5], v[42:43], v[44:45]
	v_fma_f64 v[44:45], v[42:43], s[4:5], -v[44:45]
	v_add_f64 v[64:65], v[64:65], v[76:77]
	v_fma_f64 v[68:69], s[10:11], v[50:51], v[66:67]
	v_fma_f64 v[66:67], v[50:51], s[10:11], -v[66:67]
	v_add_f64 v[132:133], v[44:45], v[62:63]
	v_mul_f64 v[44:45], v[40:41], s[30:31]
	v_add_f64 v[106:107], v[106:107], v[116:117]
	v_add_f64 v[66:67], v[66:67], v[78:79]
	v_mul_f64 v[70:71], v[48:49], s[40:41]
	v_add_f64 v[124:125], v[46:47], v[64:65]
	v_fma_f64 v[46:47], s[28:29], v[42:43], v[44:45]
	v_fma_f64 v[44:45], v[42:43], s[28:29], -v[44:45]
	v_add_f64 v[110:111], v[110:111], v[118:119]
	v_add_f64 v[92:93], v[92:93], v[106:107]
	v_add_f64 v[68:69], v[68:69], v[80:81]
	v_fma_f64 v[76:77], s[34:35], v[50:51], v[70:71]
	v_fma_f64 v[70:71], v[50:51], s[34:35], -v[70:71]
	v_add_f64 v[136:137], v[44:45], v[66:67]
	v_mul_f64 v[44:45], v[40:41], s[18:19]
	v_add_f64 v[94:95], v[94:95], v[110:111]
	v_add_f64 v[84:85], v[84:85], v[92:93]
	;; [unrolled: 1-line block ×3, first 2 shown]
	v_mul_f64 v[78:79], v[48:49], s[14:15]
	v_add_f64 v[134:135], v[46:47], v[68:69]
	v_fma_f64 v[46:47], s[10:11], v[42:43], v[44:45]
	v_fma_f64 v[44:45], v[42:43], s[10:11], -v[44:45]
	v_add_f64 v[86:87], v[86:87], v[94:95]
	v_add_f64 v[76:77], v[76:77], v[84:85]
	v_fma_f64 v[80:81], s[4:5], v[50:51], v[78:79]
	v_fma_f64 v[78:79], v[50:51], s[4:5], -v[78:79]
	v_mul_f64 v[48:49], v[48:49], s[24:25]
	v_add_f64 v[140:141], v[44:45], v[70:71]
	v_mul_f64 v[44:45], v[40:41], s[24:25]
	v_add_f64 v[78:79], v[78:79], v[86:87]
	v_fma_f64 v[82:83], s[22:23], v[50:51], v[48:49]
	v_fma_f64 v[48:49], v[50:51], s[22:23], -v[48:49]
	v_add_f64 v[138:139], v[46:47], v[76:77]
	v_fma_f64 v[46:47], s[22:23], v[42:43], v[44:45]
	v_fma_f64 v[44:45], v[42:43], s[22:23], -v[44:45]
	v_mul_f64 v[40:41], v[40:41], s[20:21]
	v_add_f64 v[48:49], v[48:49], v[56:57]
	v_add_f64 v[144:145], v[44:45], v[78:79]
	v_fma_f64 v[44:45], s[12:13], v[42:43], v[40:41]
	v_fma_f64 v[40:41], v[42:43], s[12:13], -v[40:41]
	v_add_f64 v[100:101], v[100:101], v[112:113]
	v_add_f64 v[148:149], v[40:41], v[48:49]
	v_lshlrev_b32_e32 v113, 3, v108
	v_lshlrev_b32_e32 v40, 3, v128
	v_add_f64 v[88:89], v[88:89], v[100:101]
	v_add3_u32 v130, 0, v40, v113
	v_add_f64 v[80:81], v[80:81], v[88:89]
	v_add_f64 v[82:83], v[82:83], v[90:91]
	v_add3_u32 v129, 0, v113, v40
	v_add_u32_e32 v106, 0x800, v130
	v_add_u32_e32 v107, 0x1000, v130
	;; [unrolled: 1-line block ×11, first 2 shown]
	v_add_f64 v[142:143], v[46:47], v[80:81]
	v_add_f64 v[146:147], v[44:45], v[82:83]
	s_waitcnt lgkmcnt(0)
	s_barrier
	ds_read_b64 v[100:101], v129
	ds_read2_b64 v[92:95], v106 offset0:69 offset1:134
	ds_read2_b64 v[56:59], v107 offset0:73 offset1:138
	;; [unrolled: 1-line block ×12, first 2 shown]
	v_add_u32_e32 v110, 0x41, v128
	s_waitcnt lgkmcnt(0)
	s_barrier
	ds_write2_b64 v109, v[12:13], v[102:103] offset1:1
	ds_write2_b64 v109, v[124:125], v[134:135] offset0:2 offset1:3
	ds_write2_b64 v109, v[138:139], v[142:143] offset0:4 offset1:5
	;; [unrolled: 1-line block ×5, first 2 shown]
	ds_write_b64 v109, v[122:123] offset:96
	s_and_saveexec_b64 s[4:5], s[0:1]
	s_cbranch_execz .LBB0_19
; %bb.18:
	v_add_f64 v[12:13], v[38:39], v[14:15]
	v_add_f64 v[12:13], v[26:27], v[12:13]
	;; [unrolled: 1-line block ×9, first 2 shown]
	s_mov_b32 s22, 0x42a4c3d2
	s_mov_b32 s36, 0x66966769
	;; [unrolled: 1-line block ×5, first 2 shown]
	v_add_f64 v[12:13], v[54:55], v[12:13]
	v_add_f64 v[36:37], v[36:37], -v[96:97]
	s_mov_b32 s15, 0xbfddbe06
	s_mov_b32 s14, 0x4267c47c
	;; [unrolled: 1-line block ×11, first 2 shown]
	v_add_f64 v[12:13], v[74:75], v[12:13]
	v_add_f64 v[38:39], v[98:99], v[38:39]
	v_mul_f64 v[96:97], v[36:37], s[14:15]
	s_mov_b32 s13, 0x3fec55a7
	v_mul_f64 v[102:103], v[36:37], s[22:23]
	v_mul_f64 v[122:123], v[36:37], s[36:37]
	s_mov_b32 s1, 0x3fbedb7d
	v_mul_f64 v[132:133], v[36:37], s[18:19]
	s_mov_b32 s21, 0xbfd6b1d8
	;; [unrolled: 2-line block ×3, first 2 shown]
	v_mul_f64 v[36:37], v[36:37], s[30:31]
	v_add_f64 v[12:13], v[98:99], v[12:13]
	v_fma_f64 v[98:99], s[12:13], v[38:39], v[96:97]
	v_fma_f64 v[96:97], v[38:39], s[12:13], -v[96:97]
	v_fma_f64 v[108:109], s[10:11], v[38:39], v[102:103]
	v_fma_f64 v[102:103], v[38:39], s[10:11], -v[102:103]
	;; [unrolled: 2-line block ×6, first 2 shown]
	v_add_f64 v[24:25], v[24:25], -v[72:73]
	v_add_f64 v[98:99], v[14:15], v[98:99]
	v_add_f64 v[96:97], v[14:15], v[96:97]
	;; [unrolled: 1-line block ×13, first 2 shown]
	v_mul_f64 v[36:37], v[24:25], s[22:23]
	v_fma_f64 v[38:39], s[10:11], v[26:27], v[36:37]
	v_fma_f64 v[36:37], v[26:27], s[10:11], -v[36:37]
	v_mul_f64 v[72:73], v[24:25], s[18:19]
	v_add_f64 v[36:37], v[36:37], v[96:97]
	v_fma_f64 v[74:75], s[20:21], v[26:27], v[72:73]
	v_fma_f64 v[72:73], v[26:27], s[20:21], -v[72:73]
	v_mul_f64 v[96:97], v[24:25], s[30:31]
	s_mov_b32 s39, 0x3fe5384d
	s_mov_b32 s38, s24
	v_add_f64 v[38:39], v[38:39], v[98:99]
	v_add_f64 v[72:73], v[72:73], v[102:103]
	v_fma_f64 v[98:99], s[34:35], v[26:27], v[96:97]
	v_fma_f64 v[96:97], v[26:27], s[34:35], -v[96:97]
	v_mul_f64 v[102:103], v[24:25], s[38:39]
	s_mov_b32 s29, 0x3fefc445
	s_mov_b32 s28, s36
	;; [unrolled: 1-line block ×3, first 2 shown]
	v_add_f64 v[74:75], v[74:75], v[108:109]
	v_add_f64 v[96:97], v[96:97], v[122:123]
	v_fma_f64 v[108:109], s[26:27], v[26:27], v[102:103]
	v_fma_f64 v[102:103], v[26:27], s[26:27], -v[102:103]
	v_mul_f64 v[122:123], v[24:25], s[28:29]
	v_mul_f64 v[24:25], v[24:25], s[14:15]
	v_add_f64 v[102:103], v[102:103], v[132:133]
	v_fma_f64 v[132:133], s[12:13], v[26:27], v[24:25]
	v_fma_f64 v[24:25], v[26:27], s[12:13], -v[24:25]
	v_add_f64 v[16:17], v[16:17], -v[52:53]
	v_add_f64 v[14:15], v[24:25], v[14:15]
	v_add_f64 v[18:19], v[54:55], v[18:19]
	v_mul_f64 v[24:25], v[16:17], s[36:37]
	v_add_f64 v[98:99], v[98:99], v[124:125]
	v_fma_f64 v[124:125], s[0:1], v[26:27], v[122:123]
	v_fma_f64 v[122:123], v[26:27], s[0:1], -v[122:123]
	v_fma_f64 v[26:27], s[0:1], v[18:19], v[24:25]
	v_fma_f64 v[24:25], v[18:19], s[0:1], -v[24:25]
	v_add_f64 v[24:25], v[24:25], v[36:37]
	v_mul_f64 v[36:37], v[16:17], s[30:31]
	s_mov_b32 s41, 0x3fedeba7
	s_mov_b32 s40, s18
	v_add_f64 v[26:27], v[26:27], v[38:39]
	v_fma_f64 v[38:39], s[34:35], v[18:19], v[36:37]
	v_fma_f64 v[36:37], v[18:19], s[34:35], -v[36:37]
	v_mul_f64 v[52:53], v[16:17], s[40:41]
	v_add_f64 v[36:37], v[36:37], v[72:73]
	v_fma_f64 v[54:55], s[20:21], v[18:19], v[52:53]
	v_fma_f64 v[52:53], v[18:19], s[20:21], -v[52:53]
	v_mul_f64 v[72:73], v[16:17], s[14:15]
	v_add_f64 v[38:39], v[38:39], v[74:75]
	v_add_f64 v[52:53], v[52:53], v[96:97]
	v_fma_f64 v[74:75], s[12:13], v[18:19], v[72:73]
	v_fma_f64 v[72:73], v[18:19], s[12:13], -v[72:73]
	v_mul_f64 v[96:97], v[16:17], s[22:23]
	v_mul_f64 v[16:17], v[16:17], s[24:25]
	v_add_f64 v[54:55], v[54:55], v[98:99]
	v_add_f64 v[72:73], v[72:73], v[102:103]
	v_fma_f64 v[98:99], s[10:11], v[18:19], v[96:97]
	v_fma_f64 v[96:97], v[18:19], s[10:11], -v[96:97]
	v_fma_f64 v[102:103], s[26:27], v[18:19], v[16:17]
	v_fma_f64 v[16:17], v[18:19], s[26:27], -v[16:17]
	v_add_f64 v[18:19], v[20:21], -v[32:33]
	v_add_f64 v[14:15], v[16:17], v[14:15]
	v_add_f64 v[16:17], v[34:35], v[22:23]
	v_mul_f64 v[20:21], v[18:19], s[18:19]
	v_fma_f64 v[22:23], s[20:21], v[16:17], v[20:21]
	v_fma_f64 v[20:21], v[16:17], s[20:21], -v[20:21]
	v_add_f64 v[20:21], v[20:21], v[24:25]
	v_mul_f64 v[24:25], v[18:19], s[38:39]
	v_add_f64 v[22:23], v[22:23], v[26:27]
	v_fma_f64 v[26:27], s[26:27], v[16:17], v[24:25]
	v_fma_f64 v[24:25], v[16:17], s[26:27], -v[24:25]
	v_mul_f64 v[32:33], v[18:19], s[14:15]
	v_add_f64 v[24:25], v[24:25], v[36:37]
	v_fma_f64 v[34:35], s[12:13], v[16:17], v[32:33]
	v_fma_f64 v[32:33], v[16:17], s[12:13], -v[32:33]
	v_mul_f64 v[36:37], v[18:19], s[36:37]
	s_mov_b32 s37, 0x3fcea1e5
	s_mov_b32 s36, s30
	s_mov_b32 s39, 0x3fea55e2
	s_mov_b32 s38, s22
	v_add_f64 v[26:27], v[26:27], v[38:39]
	v_add_f64 v[32:33], v[32:33], v[52:53]
	v_fma_f64 v[38:39], s[0:1], v[16:17], v[36:37]
	v_fma_f64 v[36:37], v[16:17], s[0:1], -v[36:37]
	v_mul_f64 v[52:53], v[18:19], s[36:37]
	v_mul_f64 v[18:19], v[18:19], s[38:39]
	v_add_f64 v[34:35], v[34:35], v[54:55]
	v_add_f64 v[36:37], v[36:37], v[72:73]
	v_fma_f64 v[54:55], s[34:35], v[16:17], v[52:53]
	v_fma_f64 v[52:53], v[16:17], s[34:35], -v[52:53]
	v_fma_f64 v[72:73], s[10:11], v[16:17], v[18:19]
	v_fma_f64 v[16:17], v[16:17], s[10:11], -v[18:19]
	v_add_f64 v[0:1], v[0:1], -v[28:29]
	v_add_f64 v[14:15], v[16:17], v[14:15]
	v_add_f64 v[2:3], v[30:31], v[2:3]
	v_mul_f64 v[16:17], v[0:1], s[24:25]
	v_fma_f64 v[18:19], s[26:27], v[2:3], v[16:17]
	v_fma_f64 v[16:17], v[2:3], s[26:27], -v[16:17]
	v_add_f64 v[16:17], v[16:17], v[20:21]
	v_mul_f64 v[20:21], v[0:1], s[28:29]
	v_add_f64 v[18:19], v[18:19], v[22:23]
	v_fma_f64 v[22:23], s[0:1], v[2:3], v[20:21]
	v_fma_f64 v[20:21], v[2:3], s[0:1], -v[20:21]
	v_add_f64 v[20:21], v[20:21], v[24:25]
	v_mul_f64 v[24:25], v[0:1], s[22:23]
	v_add_f64 v[22:23], v[22:23], v[26:27]
	v_fma_f64 v[26:27], s[10:11], v[2:3], v[24:25]
	v_fma_f64 v[24:25], v[2:3], s[10:11], -v[24:25]
	v_mul_f64 v[28:29], v[0:1], s[36:37]
	v_add_f64 v[24:25], v[24:25], v[32:33]
	v_fma_f64 v[30:31], s[34:35], v[2:3], v[28:29]
	v_fma_f64 v[28:29], v[2:3], s[34:35], -v[28:29]
	v_mul_f64 v[32:33], v[0:1], s[14:15]
	v_mul_f64 v[0:1], v[0:1], s[18:19]
	v_add_f64 v[4:5], v[4:5], -v[8:9]
	v_add_f64 v[26:27], v[26:27], v[34:35]
	v_add_f64 v[28:29], v[28:29], v[36:37]
	v_fma_f64 v[34:35], s[12:13], v[2:3], v[32:33]
	v_fma_f64 v[32:33], v[2:3], s[12:13], -v[32:33]
	v_fma_f64 v[36:37], s[20:21], v[2:3], v[0:1]
	v_fma_f64 v[0:1], v[2:3], s[20:21], -v[0:1]
	v_add_f64 v[2:3], v[10:11], v[6:7]
	v_mul_f64 v[6:7], v[4:5], s[30:31]
	v_fma_f64 v[8:9], s[34:35], v[2:3], v[6:7]
	v_fma_f64 v[6:7], v[2:3], s[34:35], -v[6:7]
	v_mul_f64 v[10:11], v[4:5], s[14:15]
	v_add_f64 v[0:1], v[0:1], v[14:15]
	v_add_f64 v[6:7], v[6:7], v[16:17]
	v_fma_f64 v[14:15], s[12:13], v[2:3], v[10:11]
	v_fma_f64 v[10:11], v[2:3], s[12:13], -v[10:11]
	v_mul_f64 v[16:17], v[4:5], s[24:25]
	v_add_f64 v[8:9], v[8:9], v[18:19]
	v_add_f64 v[10:11], v[10:11], v[20:21]
	v_fma_f64 v[18:19], s[26:27], v[2:3], v[16:17]
	v_fma_f64 v[16:17], v[2:3], s[26:27], -v[16:17]
	v_mul_f64 v[20:21], v[4:5], s[38:39]
	v_add_f64 v[108:109], v[108:109], v[134:135]
	v_add_f64 v[124:125], v[124:125], v[138:139]
	v_add_f64 v[122:123], v[122:123], v[136:137]
	v_add_f64 v[132:133], v[132:133], v[140:141]
	v_add_f64 v[14:15], v[14:15], v[22:23]
	v_add_f64 v[16:17], v[16:17], v[24:25]
	v_fma_f64 v[22:23], s[10:11], v[2:3], v[20:21]
	v_fma_f64 v[20:21], v[2:3], s[10:11], -v[20:21]
	v_mul_f64 v[24:25], v[4:5], s[18:19]
	v_mul_f64 v[4:5], v[4:5], s[28:29]
	v_add_f64 v[74:75], v[74:75], v[108:109]
	v_add_f64 v[98:99], v[98:99], v[124:125]
	;; [unrolled: 1-line block ×6, first 2 shown]
	v_fma_f64 v[26:27], s[20:21], v[2:3], v[24:25]
	v_fma_f64 v[24:25], v[2:3], s[20:21], -v[24:25]
	v_fma_f64 v[28:29], s[0:1], v[2:3], v[4:5]
	v_fma_f64 v[2:3], v[2:3], s[0:1], -v[4:5]
	v_add_f64 v[38:39], v[38:39], v[74:75]
	v_add_f64 v[54:55], v[54:55], v[98:99]
	;; [unrolled: 1-line block ×5, first 2 shown]
	v_mul_u32_u24_e32 v2, 0x68, v110
	v_add_f64 v[30:31], v[30:31], v[38:39]
	v_add_f64 v[34:35], v[34:35], v[54:55]
	;; [unrolled: 1-line block ×4, first 2 shown]
	v_add3_u32 v2, 0, v2, v113
	v_add_f64 v[22:23], v[22:23], v[30:31]
	v_add_f64 v[26:27], v[26:27], v[34:35]
	;; [unrolled: 1-line block ×4, first 2 shown]
	ds_write2_b64 v2, v[12:13], v[8:9] offset1:1
	ds_write2_b64 v2, v[14:15], v[18:19] offset0:2 offset1:3
	ds_write2_b64 v2, v[22:23], v[26:27] offset0:4 offset1:5
	ds_write2_b64 v2, v[28:29], v[0:1] offset0:6 offset1:7
	ds_write2_b64 v2, v[24:25], v[20:21] offset0:8 offset1:9
	ds_write2_b64 v2, v[16:17], v[10:11] offset0:10 offset1:11
	ds_write_b64 v2, v[6:7] offset:96
.LBB0_19:
	s_or_b64 exec, exec, s[4:5]
	s_movk_i32 s0, 0x4f
	v_mul_lo_u16_sdwa v0, v128, s0 dst_sel:DWORD dst_unused:UNUSED_PAD src0_sel:BYTE_0 src1_sel:DWORD
	v_lshrrev_b16_e32 v108, 10, v0
	v_mul_lo_u16_e32 v0, 13, v108
	v_sub_u16_e32 v109, v128, v0
	v_mov_b32_e32 v124, 6
	v_lshlrev_b32_sdwa v4, v124, v109 dst_sel:DWORD dst_unused:UNUSED_PAD src0_sel:DWORD src1_sel:BYTE_0
	s_waitcnt lgkmcnt(0)
	s_barrier
	global_load_dwordx4 v[0:3], v4, s[8:9] offset:16
	global_load_dwordx4 v[22:25], v4, s[8:9]
	global_load_dwordx4 v[14:17], v4, s[8:9] offset:48
	global_load_dwordx4 v[18:21], v4, s[8:9] offset:32
	v_mul_lo_u16_sdwa v4, v110, s0 dst_sel:DWORD dst_unused:UNUSED_PAD src0_sel:BYTE_0 src1_sel:DWORD
	v_lshrrev_b16_e32 v122, 10, v4
	v_mul_lo_u16_e32 v4, 13, v122
	v_sub_u16_e32 v123, v110, v4
	v_lshlrev_b32_sdwa v4, v124, v123 dst_sel:DWORD dst_unused:UNUSED_PAD src0_sel:DWORD src1_sel:BYTE_0
	v_add_u32_e32 v131, 0x82, v128
	global_load_dwordx4 v[26:29], v4, s[8:9]
	global_load_dwordx4 v[30:33], v4, s[8:9] offset:16
	global_load_dwordx4 v[34:37], v4, s[8:9] offset:32
	;; [unrolled: 1-line block ×3, first 2 shown]
	v_mul_lo_u16_sdwa v4, v131, s0 dst_sel:DWORD dst_unused:UNUSED_PAD src0_sel:BYTE_0 src1_sel:DWORD
	v_lshrrev_b16_e32 v125, 10, v4
	v_mul_lo_u16_e32 v4, 13, v125
	v_sub_u16_e32 v133, v131, v4
	v_lshlrev_b32_sdwa v4, v124, v133 dst_sel:DWORD dst_unused:UNUSED_PAD src0_sel:DWORD src1_sel:BYTE_0
	v_add_u32_e32 v132, 0xc3, v128
	s_movk_i32 s0, 0x4ec5
	global_load_dwordx4 v[96:99], v4, s[8:9]
	global_load_dwordx4 v[138:141], v4, s[8:9] offset:16
	global_load_dwordx4 v[142:145], v4, s[8:9] offset:48
	global_load_dwordx4 v[146:149], v4, s[8:9] offset:32
	v_mul_u32_u24_sdwa v4, v132, s0 dst_sel:DWORD dst_unused:UNUSED_PAD src0_sel:WORD_0 src1_sel:DWORD
	v_lshrrev_b32_e32 v134, 18, v4
	v_mul_lo_u16_e32 v4, 13, v134
	v_sub_u16_e32 v135, v132, v4
	v_lshlrev_b32_e32 v4, 6, v135
	v_add_u32_e32 v127, 0x104, v128
	global_load_dwordx4 v[150:153], v4, s[8:9]
	global_load_dwordx4 v[154:157], v4, s[8:9] offset:16
	global_load_dwordx4 v[158:161], v4, s[8:9] offset:48
	global_load_dwordx4 v[162:165], v4, s[8:9] offset:32
	v_mul_u32_u24_sdwa v4, v127, s0 dst_sel:DWORD dst_unused:UNUSED_PAD src0_sel:WORD_0 src1_sel:DWORD
	v_lshrrev_b32_e32 v136, 18, v4
	v_mul_lo_u16_e32 v4, 13, v136
	v_sub_u16_e32 v137, v127, v4
	v_lshlrev_b32_e32 v4, 6, v137
	global_load_dwordx4 v[166:169], v4, s[8:9] offset:16
	global_load_dwordx4 v[170:173], v4, s[8:9]
	ds_read_b64 v[72:73], v129
	ds_read2_b64 v[174:177], v106 offset0:69 offset1:134
	ds_read2_b64 v[178:181], v107 offset0:73 offset1:138
	;; [unrolled: 1-line block ×5, first 2 shown]
	global_load_dwordx4 v[190:193], v4, s[8:9] offset:48
	global_load_dwordx4 v[194:197], v4, s[8:9] offset:32
	ds_read2_b64 v[198:201], v114 offset0:75 offset1:140
	ds_read2_b64 v[202:205], v115 offset0:85 offset1:150
	;; [unrolled: 1-line block ×7, first 2 shown]
	s_mov_b32 s0, 0x134454ff
	s_mov_b32 s1, 0x3fee6f0e
	;; [unrolled: 1-line block ×10, first 2 shown]
	s_movk_i32 s18, 0x208
	s_waitcnt lgkmcnt(0)
	s_barrier
	s_waitcnt vmcnt(19)
	v_mul_f64 v[222:223], v[58:59], v[2:3]
	s_waitcnt vmcnt(18)
	v_mul_f64 v[4:5], v[174:175], v[24:25]
	v_mul_f64 v[74:75], v[92:93], v[24:25]
	;; [unrolled: 1-line block ×3, first 2 shown]
	v_fmac_f64_e32 v[74:75], v[174:175], v[22:23]
	v_fma_f64 v[174:175], v[58:59], v[0:1], -v[24:25]
	v_fmac_f64_e32 v[222:223], v[180:181], v[0:1]
	s_waitcnt vmcnt(16)
	v_mul_f64 v[2:3], v[182:183], v[20:21]
	s_waitcnt vmcnt(14)
	v_mul_f64 v[230:231], v[84:85], v[32:33]
	;; [unrolled: 2-line block ×3, first 2 shown]
	v_mul_f64 v[224:225], v[88:89], v[20:21]
	v_mul_f64 v[20:21], v[188:189], v[16:17]
	;; [unrolled: 1-line block ×6, first 2 shown]
	v_fmac_f64_e32 v[230:231], v[198:199], v[30:31]
	v_fma_f64 v[198:199], v[90:91], v[34:35], -v[0:1]
	v_mul_f64 v[232:233], v[90:91], v[36:37]
	s_waitcnt vmcnt(12)
	v_mul_f64 v[0:1], v[202:203], v[54:55]
	v_fmac_f64_e32 v[232:233], v[184:185], v[34:35]
	v_fma_f64 v[184:185], v[80:81], v[52:53], -v[0:1]
	s_waitcnt vmcnt(11)
	v_mul_f64 v[0:1], v[206:207], v[98:99]
	v_fma_f64 v[228:229], v[92:93], v[22:23], -v[4:5]
	v_fma_f64 v[92:93], v[76:77], v[96:97], -v[0:1]
	s_waitcnt vmcnt(10)
	v_mul_f64 v[0:1], v[200:201], v[140:141]
	v_fmac_f64_e32 v[226:227], v[188:189], v[14:15]
	v_fma_f64 v[188:189], v[94:95], v[26:27], -v[16:17]
	v_mul_f64 v[234:235], v[80:81], v[54:55]
	v_mul_f64 v[80:81], v[76:77], v[98:99]
	v_fma_f64 v[94:95], v[86:87], v[138:139], -v[0:1]
	s_waitcnt vmcnt(8)
	v_mul_f64 v[0:1], v[210:211], v[148:149]
	v_fmac_f64_e32 v[80:81], v[206:207], v[96:97]
	v_fma_f64 v[96:97], v[68:69], v[146:147], -v[0:1]
	v_mul_f64 v[0:1], v[204:205], v[144:145]
	v_fma_f64 v[98:99], v[82:83], v[142:143], -v[0:1]
	s_waitcnt vmcnt(7)
	v_mul_f64 v[0:1], v[208:209], v[152:153]
	v_fmac_f64_e32 v[224:225], v[182:183], v[18:19]
	v_fma_f64 v[182:183], v[50:51], v[14:15], -v[20:21]
	v_fma_f64 v[50:51], v[78:79], v[150:151], -v[0:1]
	s_waitcnt vmcnt(6)
	v_mul_f64 v[0:1], v[214:215], v[156:157]
	v_fma_f64 v[180:181], v[88:89], v[18:19], -v[2:3]
	v_fmac_f64_e32 v[234:235], v[202:203], v[52:53]
	v_fma_f64 v[52:53], v[64:65], v[154:155], -v[0:1]
	s_waitcnt vmcnt(4)
	v_mul_f64 v[0:1], v[212:213], v[164:165]
	s_waitcnt vmcnt(3)
	v_mul_f64 v[2:3], v[216:217], v[168:169]
	v_fma_f64 v[54:55], v[70:71], v[162:163], -v[0:1]
	v_mul_f64 v[0:1], v[218:219], v[160:161]
	v_fma_f64 v[24:25], v[66:67], v[166:167], -v[2:3]
	s_waitcnt vmcnt(0)
	v_mul_f64 v[2:3], v[186:187], v[196:197]
	v_add_f64 v[4:5], v[174:175], v[180:181]
	v_fmac_f64_e32 v[102:103], v[176:177], v[26:27]
	v_mul_f64 v[34:35], v[64:65], v[156:157]
	v_fma_f64 v[64:65], v[60:61], v[158:159], -v[0:1]
	v_mul_f64 v[0:1], v[178:179], v[172:173]
	v_fma_f64 v[26:27], v[48:49], v[194:195], -v[2:3]
	v_mul_f64 v[16:17], v[48:49], v[196:197]
	v_fma_f64 v[4:5], -0.5, v[4:5], v[100:101]
	v_add_f64 v[48:49], v[74:75], -v[226:227]
	v_fma_f64 v[22:23], v[56:57], v[170:171], -v[0:1]
	v_mul_f64 v[0:1], v[56:57], v[172:173]
	v_fma_f64 v[18:19], s[0:1], v[48:49], v[4:5]
	v_add_f64 v[56:57], v[222:223], -v[224:225]
	v_add_f64 v[32:33], v[228:229], -v[174:175]
	;; [unrolled: 1-line block ×3, first 2 shown]
	v_fmac_f64_e32 v[4:5], s[12:13], v[48:49]
	v_fmac_f64_e32 v[18:19], s[4:5], v[56:57]
	v_add_f64 v[32:33], v[32:33], v[58:59]
	v_fmac_f64_e32 v[4:5], s[14:15], v[56:57]
	v_mul_f64 v[2:3], v[220:221], v[192:193]
	v_fmac_f64_e32 v[18:19], s[10:11], v[32:33]
	v_fmac_f64_e32 v[4:5], s[10:11], v[32:33]
	v_add_f64 v[32:33], v[228:229], v[182:183]
	v_fma_f64 v[176:177], v[84:85], v[30:31], -v[28:29]
	v_fma_f64 v[28:29], v[62:63], v[190:191], -v[2:3]
	v_add_f64 v[2:3], v[100:101], v[228:229]
	v_fmac_f64_e32 v[100:101], -0.5, v[32:33]
	v_fma_f64 v[32:33], s[12:13], v[56:57], v[100:101]
	v_fmac_f64_e32 v[100:101], s[0:1], v[56:57]
	v_fmac_f64_e32 v[32:33], s[4:5], v[48:49]
	;; [unrolled: 1-line block ×3, first 2 shown]
	v_add_f64 v[48:49], v[72:73], v[74:75]
	v_add_f64 v[48:49], v[48:49], v[222:223]
	v_mul_f64 v[38:39], v[60:61], v[160:161]
	v_add_f64 v[58:59], v[174:175], -v[228:229]
	v_add_f64 v[60:61], v[180:181], -v[182:183]
	v_add_f64 v[48:49], v[48:49], v[224:225]
	v_add_f64 v[58:59], v[58:59], v[60:61]
	;; [unrolled: 1-line block ×4, first 2 shown]
	v_fmac_f64_e32 v[32:33], s[10:11], v[58:59]
	v_fmac_f64_e32 v[100:101], s[10:11], v[58:59]
	v_fma_f64 v[58:59], -0.5, v[48:49], v[72:73]
	v_add_f64 v[48:49], v[228:229], -v[182:183]
	v_mul_f64 v[84:85], v[86:87], v[140:141]
	v_mul_f64 v[86:87], v[68:69], v[148:149]
	;; [unrolled: 1-line block ×4, first 2 shown]
	v_fma_f64 v[60:61], s[12:13], v[48:49], v[58:59]
	v_add_f64 v[66:67], v[174:175], -v[180:181]
	v_add_f64 v[62:63], v[74:75], -v[222:223]
	;; [unrolled: 1-line block ×3, first 2 shown]
	v_fmac_f64_e32 v[58:59], s[0:1], v[48:49]
	v_fmac_f64_e32 v[60:61], s[14:15], v[66:67]
	v_add_f64 v[62:63], v[62:63], v[68:69]
	v_fmac_f64_e32 v[58:59], s[4:5], v[66:67]
	v_fmac_f64_e32 v[60:61], s[10:11], v[62:63]
	;; [unrolled: 1-line block ×3, first 2 shown]
	v_add_f64 v[62:63], v[74:75], v[226:227]
	v_fmac_f64_e32 v[72:73], -0.5, v[62:63]
	v_mul_f64 v[36:37], v[70:71], v[164:165]
	v_fma_f64 v[62:63], s[0:1], v[66:67], v[72:73]
	v_add_f64 v[68:69], v[222:223], -v[74:75]
	v_add_f64 v[70:71], v[224:225], -v[226:227]
	v_fmac_f64_e32 v[72:73], s[12:13], v[66:67]
	v_add_f64 v[66:67], v[176:177], v[198:199]
	v_fmac_f64_e32 v[62:63], s[14:15], v[48:49]
	v_add_f64 v[68:69], v[68:69], v[70:71]
	v_fmac_f64_e32 v[72:73], s[4:5], v[48:49]
	v_fma_f64 v[74:75], -0.5, v[66:67], v[44:45]
	v_add_f64 v[66:67], v[102:103], -v[234:235]
	v_mul_f64 v[30:31], v[78:79], v[152:153]
	v_fmac_f64_e32 v[62:63], s[10:11], v[68:69]
	v_fmac_f64_e32 v[72:73], s[10:11], v[68:69]
	v_fma_f64 v[76:77], s[0:1], v[66:67], v[74:75]
	v_add_f64 v[68:69], v[230:231], -v[232:233]
	v_add_f64 v[70:71], v[188:189], -v[176:177]
	v_add_f64 v[78:79], v[184:185], -v[198:199]
	v_fmac_f64_e32 v[74:75], s[12:13], v[66:67]
	v_fmac_f64_e32 v[76:77], s[4:5], v[68:69]
	v_add_f64 v[70:71], v[70:71], v[78:79]
	v_fmac_f64_e32 v[74:75], s[14:15], v[68:69]
	v_fmac_f64_e32 v[76:77], s[10:11], v[70:71]
	v_fmac_f64_e32 v[74:75], s[10:11], v[70:71]
	v_add_f64 v[70:71], v[188:189], v[184:185]
	v_add_f64 v[48:49], v[44:45], v[188:189]
	v_fma_f64 v[44:45], -0.5, v[70:71], v[44:45]
	v_fma_f64 v[90:91], s[12:13], v[68:69], v[44:45]
	v_add_f64 v[70:71], v[176:177], -v[188:189]
	v_add_f64 v[78:79], v[198:199], -v[184:185]
	v_fmac_f64_e32 v[44:45], s[0:1], v[68:69]
	v_add_f64 v[68:69], v[230:231], v[232:233]
	v_fmac_f64_e32 v[84:85], v[200:201], v[138:139]
	v_fmac_f64_e32 v[90:91], s[4:5], v[66:67]
	v_add_f64 v[70:71], v[70:71], v[78:79]
	v_fmac_f64_e32 v[44:45], s[14:15], v[66:67]
	v_fma_f64 v[68:69], -0.5, v[68:69], v[6:7]
	v_add_f64 v[138:139], v[188:189], -v[184:185]
	v_mul_f64 v[88:89], v[82:83], v[144:145]
	v_fmac_f64_e32 v[90:91], s[10:11], v[70:71]
	v_fmac_f64_e32 v[44:45], s[10:11], v[70:71]
	v_fma_f64 v[70:71], s[12:13], v[138:139], v[68:69]
	v_add_f64 v[140:141], v[176:177], -v[198:199]
	v_add_f64 v[78:79], v[102:103], -v[230:231]
	;; [unrolled: 1-line block ×3, first 2 shown]
	v_fmac_f64_e32 v[68:69], s[0:1], v[138:139]
	v_fmac_f64_e32 v[70:71], s[14:15], v[140:141]
	v_add_f64 v[78:79], v[78:79], v[82:83]
	v_fmac_f64_e32 v[68:69], s[4:5], v[140:141]
	v_fmac_f64_e32 v[70:71], s[10:11], v[78:79]
	;; [unrolled: 1-line block ×3, first 2 shown]
	v_add_f64 v[78:79], v[102:103], v[234:235]
	v_add_f64 v[66:67], v[6:7], v[102:103]
	v_fma_f64 v[78:79], -0.5, v[78:79], v[6:7]
	v_add_f64 v[6:7], v[230:231], -v[102:103]
	v_add_f64 v[102:103], v[232:233], -v[234:235]
	v_fmac_f64_e32 v[88:89], v[204:205], v[142:143]
	v_fma_f64 v[82:83], s[0:1], v[140:141], v[78:79]
	v_add_f64 v[6:7], v[6:7], v[102:103]
	v_fmac_f64_e32 v[78:79], s[12:13], v[140:141]
	v_add_f64 v[102:103], v[94:95], v[96:97]
	v_fmac_f64_e32 v[86:87], v[210:211], v[146:147]
	v_fmac_f64_e32 v[82:83], s[14:15], v[138:139]
	v_fmac_f64_e32 v[78:79], s[4:5], v[138:139]
	v_fma_f64 v[138:139], -0.5, v[102:103], v[46:47]
	v_add_f64 v[102:103], v[80:81], -v[88:89]
	v_fma_f64 v[140:141], s[0:1], v[102:103], v[138:139]
	v_add_f64 v[142:143], v[84:85], -v[86:87]
	v_add_f64 v[144:145], v[92:93], -v[94:95]
	;; [unrolled: 1-line block ×3, first 2 shown]
	v_fmac_f64_e32 v[138:139], s[12:13], v[102:103]
	v_fmac_f64_e32 v[140:141], s[4:5], v[142:143]
	v_add_f64 v[144:145], v[144:145], v[146:147]
	v_fmac_f64_e32 v[138:139], s[14:15], v[142:143]
	v_fmac_f64_e32 v[140:141], s[10:11], v[144:145]
	;; [unrolled: 1-line block ×3, first 2 shown]
	v_add_f64 v[144:145], v[92:93], v[98:99]
	v_fmac_f64_e32 v[82:83], s[10:11], v[6:7]
	v_fmac_f64_e32 v[78:79], s[10:11], v[6:7]
	v_add_f64 v[6:7], v[46:47], v[92:93]
	v_fmac_f64_e32 v[46:47], -0.5, v[144:145]
	v_fma_f64 v[144:145], s[12:13], v[142:143], v[46:47]
	v_fmac_f64_e32 v[46:47], s[0:1], v[142:143]
	v_fmac_f64_e32 v[144:145], s[4:5], v[102:103]
	;; [unrolled: 1-line block ×3, first 2 shown]
	v_add_f64 v[102:103], v[8:9], v[80:81]
	v_add_f64 v[102:103], v[102:103], v[84:85]
	v_add_f64 v[146:147], v[94:95], -v[92:93]
	v_add_f64 v[148:149], v[96:97], -v[98:99]
	v_add_f64 v[102:103], v[102:103], v[86:87]
	v_add_f64 v[6:7], v[6:7], v[94:95]
	;; [unrolled: 1-line block ×6, first 2 shown]
	v_fmac_f64_e32 v[144:145], s[10:11], v[146:147]
	v_fmac_f64_e32 v[46:47], s[10:11], v[146:147]
	v_fma_f64 v[146:147], -0.5, v[102:103], v[8:9]
	v_add_f64 v[92:93], v[92:93], -v[98:99]
	v_add_f64 v[6:7], v[6:7], v[98:99]
	v_fma_f64 v[98:99], s[12:13], v[92:93], v[146:147]
	v_add_f64 v[94:95], v[94:95], -v[96:97]
	v_add_f64 v[96:97], v[80:81], -v[84:85]
	;; [unrolled: 1-line block ×3, first 2 shown]
	v_fmac_f64_e32 v[146:147], s[0:1], v[92:93]
	v_fmac_f64_e32 v[98:99], s[14:15], v[94:95]
	v_add_f64 v[96:97], v[96:97], v[102:103]
	v_fmac_f64_e32 v[146:147], s[4:5], v[94:95]
	v_fmac_f64_e32 v[98:99], s[10:11], v[96:97]
	;; [unrolled: 1-line block ×3, first 2 shown]
	v_add_f64 v[96:97], v[80:81], v[88:89]
	v_add_f64 v[80:81], v[84:85], -v[80:81]
	v_add_f64 v[84:85], v[86:87], -v[88:89]
	v_fmac_f64_e32 v[30:31], v[208:209], v[150:151]
	v_fmac_f64_e32 v[38:39], v[218:219], v[158:159]
	v_fmac_f64_e32 v[8:9], -0.5, v[96:97]
	v_add_f64 v[80:81], v[80:81], v[84:85]
	v_add_f64 v[84:85], v[52:53], v[54:55]
	v_fmac_f64_e32 v[34:35], v[214:215], v[154:155]
	v_fmac_f64_e32 v[36:37], v[212:213], v[162:163]
	v_fma_f64 v[96:97], s[0:1], v[94:95], v[8:9]
	v_fmac_f64_e32 v[8:9], s[12:13], v[94:95]
	v_fma_f64 v[84:85], -0.5, v[84:85], v[40:41]
	v_add_f64 v[86:87], v[30:31], -v[38:39]
	v_fmac_f64_e32 v[96:97], s[14:15], v[92:93]
	v_fmac_f64_e32 v[8:9], s[4:5], v[92:93]
	v_fma_f64 v[88:89], s[0:1], v[86:87], v[84:85]
	v_add_f64 v[92:93], v[34:35], -v[36:37]
	v_add_f64 v[94:95], v[50:51], -v[52:53]
	;; [unrolled: 1-line block ×3, first 2 shown]
	v_fmac_f64_e32 v[84:85], s[12:13], v[86:87]
	v_fmac_f64_e32 v[88:89], s[4:5], v[92:93]
	v_add_f64 v[94:95], v[94:95], v[102:103]
	v_fmac_f64_e32 v[84:85], s[14:15], v[92:93]
	v_fmac_f64_e32 v[88:89], s[10:11], v[94:95]
	;; [unrolled: 1-line block ×3, first 2 shown]
	v_add_f64 v[94:95], v[50:51], v[64:65]
	v_fmac_f64_e32 v[96:97], s[10:11], v[80:81]
	v_fmac_f64_e32 v[8:9], s[10:11], v[80:81]
	v_add_f64 v[80:81], v[40:41], v[50:51]
	v_fma_f64 v[40:41], -0.5, v[94:95], v[40:41]
	v_add_f64 v[80:81], v[80:81], v[52:53]
	v_fma_f64 v[94:95], s[12:13], v[92:93], v[40:41]
	v_fmac_f64_e32 v[40:41], s[0:1], v[92:93]
	v_add_f64 v[92:93], v[34:35], v[36:37]
	v_add_f64 v[80:81], v[80:81], v[54:55]
	v_add_f64 v[102:103], v[52:53], -v[50:51]
	v_add_f64 v[148:149], v[54:55], -v[64:65]
	v_fma_f64 v[92:93], -0.5, v[92:93], v[10:11]
	v_add_f64 v[50:51], v[50:51], -v[64:65]
	v_add_f64 v[80:81], v[80:81], v[64:65]
	v_add_f64 v[102:103], v[102:103], v[148:149]
	v_fma_f64 v[148:149], s[12:13], v[50:51], v[92:93]
	v_add_f64 v[52:53], v[52:53], -v[54:55]
	v_add_f64 v[54:55], v[30:31], -v[34:35]
	;; [unrolled: 1-line block ×3, first 2 shown]
	v_fmac_f64_e32 v[92:93], s[0:1], v[50:51]
	v_fmac_f64_e32 v[94:95], s[4:5], v[86:87]
	;; [unrolled: 1-line block ×3, first 2 shown]
	v_add_f64 v[86:87], v[10:11], v[30:31]
	v_fmac_f64_e32 v[148:149], s[14:15], v[52:53]
	v_add_f64 v[54:55], v[54:55], v[64:65]
	v_fmac_f64_e32 v[92:93], s[4:5], v[52:53]
	v_add_f64 v[86:87], v[86:87], v[34:35]
	v_fmac_f64_e32 v[148:149], s[10:11], v[54:55]
	v_fmac_f64_e32 v[92:93], s[10:11], v[54:55]
	v_add_f64 v[54:55], v[30:31], v[38:39]
	v_add_f64 v[30:31], v[34:35], -v[30:31]
	v_add_f64 v[34:35], v[36:37], -v[38:39]
	v_fmac_f64_e32 v[0:1], v[178:179], v[170:171]
	v_fmac_f64_e32 v[20:21], v[220:221], v[190:191]
	v_fma_f64 v[10:11], -0.5, v[54:55], v[10:11]
	v_add_f64 v[30:31], v[30:31], v[34:35]
	v_add_f64 v[34:35], v[24:25], v[26:27]
	v_fmac_f64_e32 v[14:15], v[216:217], v[166:167]
	v_fmac_f64_e32 v[16:17], v[186:187], v[194:195]
	v_add_f64 v[86:87], v[86:87], v[36:37]
	v_fma_f64 v[150:151], s[0:1], v[52:53], v[10:11]
	v_fmac_f64_e32 v[10:11], s[12:13], v[52:53]
	v_fma_f64 v[34:35], -0.5, v[34:35], v[42:43]
	v_add_f64 v[36:37], v[0:1], -v[20:21]
	v_add_f64 v[86:87], v[86:87], v[38:39]
	v_fmac_f64_e32 v[150:151], s[14:15], v[50:51]
	v_fmac_f64_e32 v[10:11], s[4:5], v[50:51]
	v_fma_f64 v[38:39], s[0:1], v[36:37], v[34:35]
	v_add_f64 v[50:51], v[14:15], -v[16:17]
	v_add_f64 v[52:53], v[22:23], -v[24:25]
	;; [unrolled: 1-line block ×3, first 2 shown]
	v_fmac_f64_e32 v[34:35], s[12:13], v[36:37]
	v_fmac_f64_e32 v[38:39], s[4:5], v[50:51]
	v_add_f64 v[52:53], v[52:53], v[54:55]
	v_fmac_f64_e32 v[34:35], s[14:15], v[50:51]
	v_fmac_f64_e32 v[38:39], s[10:11], v[52:53]
	;; [unrolled: 1-line block ×3, first 2 shown]
	v_add_f64 v[52:53], v[22:23], v[28:29]
	v_fmac_f64_e32 v[150:151], s[10:11], v[30:31]
	v_fmac_f64_e32 v[10:11], s[10:11], v[30:31]
	v_add_f64 v[30:31], v[42:43], v[22:23]
	v_fmac_f64_e32 v[42:43], -0.5, v[52:53]
	v_fma_f64 v[52:53], s[12:13], v[50:51], v[42:43]
	v_fmac_f64_e32 v[42:43], s[0:1], v[50:51]
	v_fmac_f64_e32 v[52:53], s[4:5], v[36:37]
	;; [unrolled: 1-line block ×3, first 2 shown]
	v_add_f64 v[36:37], v[12:13], v[0:1]
	v_add_f64 v[36:37], v[36:37], v[14:15]
	;; [unrolled: 1-line block ×7, first 2 shown]
	v_add_f64 v[54:55], v[24:25], -v[22:23]
	v_fma_f64 v[154:155], -0.5, v[36:37], v[12:13]
	v_add_f64 v[22:23], v[22:23], -v[28:29]
	v_add_f64 v[30:31], v[30:31], v[28:29]
	v_add_f64 v[64:65], v[26:27], -v[28:29]
	v_fma_f64 v[156:157], s[12:13], v[22:23], v[154:155]
	v_add_f64 v[24:25], v[24:25], -v[26:27]
	v_add_f64 v[26:27], v[0:1], -v[14:15]
	;; [unrolled: 1-line block ×3, first 2 shown]
	v_fmac_f64_e32 v[154:155], s[0:1], v[22:23]
	v_fmac_f64_e32 v[156:157], s[14:15], v[24:25]
	v_add_f64 v[26:27], v[26:27], v[28:29]
	v_fmac_f64_e32 v[154:155], s[4:5], v[24:25]
	v_fmac_f64_e32 v[156:157], s[10:11], v[26:27]
	v_fmac_f64_e32 v[154:155], s[10:11], v[26:27]
	v_add_f64 v[26:27], v[0:1], v[20:21]
	v_fmac_f64_e32 v[12:13], -0.5, v[26:27]
	v_fma_f64 v[158:159], s[0:1], v[24:25], v[12:13]
	v_add_f64 v[0:1], v[14:15], -v[0:1]
	v_add_f64 v[14:15], v[16:17], -v[20:21]
	v_fmac_f64_e32 v[12:13], s[12:13], v[24:25]
	v_fmac_f64_e32 v[94:95], s[10:11], v[102:103]
	;; [unrolled: 1-line block ×4, first 2 shown]
	v_add_f64 v[0:1], v[0:1], v[14:15]
	v_fmac_f64_e32 v[12:13], s[4:5], v[22:23]
	v_mov_b32_e32 v102, 3
	v_add_f64 v[2:3], v[2:3], v[174:175]
	v_add_f64 v[48:49], v[48:49], v[176:177]
	v_fmac_f64_e32 v[158:159], s[10:11], v[0:1]
	v_fmac_f64_e32 v[12:13], s[10:11], v[0:1]
	v_mad_u32_u24 v0, v108, s18, 0
	v_lshlrev_b32_sdwa v1, v102, v109 dst_sel:DWORD dst_unused:UNUSED_PAD src0_sel:DWORD src1_sel:BYTE_0
	v_add_f64 v[2:3], v[2:3], v[180:181]
	v_add_f64 v[48:49], v[48:49], v[198:199]
	v_add3_u32 v14, v0, v1, v113
	v_mad_u32_u24 v0, v122, s18, 0
	v_lshlrev_b32_sdwa v1, v102, v123 dst_sel:DWORD dst_unused:UNUSED_PAD src0_sel:DWORD src1_sel:BYTE_0
	v_add_f64 v[2:3], v[2:3], v[182:183]
	v_add_f64 v[48:49], v[48:49], v[184:185]
	v_add3_u32 v15, v0, v1, v113
	v_mad_u32_u24 v0, v125, s18, 0
	v_lshlrev_b32_sdwa v1, v102, v133 dst_sel:DWORD dst_unused:UNUSED_PAD src0_sel:DWORD src1_sel:BYTE_0
	ds_write2_b64 v14, v[2:3], v[18:19] offset1:13
	ds_write2_b64 v14, v[32:33], v[100:101] offset0:26 offset1:39
	ds_write_b64 v14, v[4:5] offset:416
	ds_write2_b64 v15, v[48:49], v[76:77] offset1:13
	ds_write2_b64 v15, v[90:91], v[44:45] offset0:26 offset1:39
	ds_write_b64 v15, v[74:75] offset:416
	v_add3_u32 v74, v0, v1, v113
	v_mad_u32_u24 v0, v134, s18, 0
	v_lshlrev_b32_e32 v1, 3, v135
	v_add_f64 v[66:67], v[66:67], v[230:231]
	v_add_f64 v[54:55], v[54:55], v[64:65]
	v_add3_u32 v75, v0, v1, v113
	v_mad_u32_u24 v0, v136, s18, 0
	v_lshlrev_b32_e32 v1, 3, v137
	v_add_f64 v[66:67], v[66:67], v[232:233]
	v_fmac_f64_e32 v[52:53], s[10:11], v[54:55]
	v_fmac_f64_e32 v[42:43], s[10:11], v[54:55]
	v_add3_u32 v76, v0, v1, v113
	s_movk_i32 s18, 0xfd
	v_add_f64 v[66:67], v[66:67], v[234:235]
	ds_write2_b64 v74, v[6:7], v[140:141] offset1:13
	ds_write2_b64 v74, v[144:145], v[46:47] offset0:26 offset1:39
	ds_write_b64 v74, v[138:139] offset:416
	ds_write2_b64 v75, v[80:81], v[88:89] offset1:13
	ds_write2_b64 v75, v[94:95], v[40:41] offset0:26 offset1:39
	ds_write_b64 v75, v[84:85] offset:416
	;; [unrolled: 3-line block ×3, first 2 shown]
	s_waitcnt lgkmcnt(0)
	s_barrier
	ds_read_b64 v[64:65], v129
	ds_read2_b64 v[52:55], v106 offset0:69 offset1:134
	ds_read2_b64 v[24:27], v107 offset0:73 offset1:138
	;; [unrolled: 1-line block ×12, first 2 shown]
	s_waitcnt lgkmcnt(0)
	s_barrier
	ds_write2_b64 v14, v[56:57], v[60:61] offset1:13
	ds_write2_b64 v14, v[62:63], v[72:73] offset0:26 offset1:39
	ds_write_b64 v14, v[58:59] offset:416
	ds_write2_b64 v15, v[66:67], v[70:71] offset1:13
	ds_write2_b64 v15, v[82:83], v[78:79] offset0:26 offset1:39
	ds_write_b64 v15, v[68:69] offset:416
	ds_write2_b64 v74, v[142:143], v[98:99] offset1:13
	ds_write2_b64 v74, v[96:97], v[8:9] offset0:26 offset1:39
	ds_write_b64 v74, v[146:147] offset:416
	ds_write2_b64 v75, v[86:87], v[148:149] offset1:13
	ds_write2_b64 v75, v[150:151], v[10:11] offset0:26 offset1:39
	ds_write_b64 v75, v[92:93] offset:416
	ds_write2_b64 v76, v[152:153], v[156:157] offset1:13
	ds_write2_b64 v76, v[158:159], v[12:13] offset0:26 offset1:39
	ds_write_b64 v76, v[154:155] offset:416
	v_lshlrev_b32_e32 v108, 2, v128
	v_mov_b32_e32 v109, 0
	v_mul_lo_u16_sdwa v8, v131, s18 dst_sel:DWORD dst_unused:UNUSED_PAD src0_sel:BYTE_0 src1_sel:DWORD
	v_lshl_add_u64 v[122:123], v[108:109], 4, s[8:9]
	v_lshrrev_b16_e32 v8, 14, v8
	s_waitcnt lgkmcnt(0)
	s_barrier
	global_load_dwordx4 v[68:71], v[122:123], off offset:832
	global_load_dwordx4 v[72:75], v[122:123], off offset:848
	;; [unrolled: 1-line block ×4, first 2 shown]
	v_mul_lo_u16_e32 v8, 0x41, v8
	v_sub_u16_e32 v100, v131, v8
	v_lshlrev_b32_sdwa v8, v124, v100 dst_sel:DWORD dst_unused:UNUSED_PAD src0_sel:DWORD src1_sel:BYTE_0
	s_movk_i32 s18, 0xfc1
	global_load_dwordx4 v[76:79], v8, s[8:9] offset:832
	global_load_dwordx4 v[82:85], v8, s[8:9] offset:848
	;; [unrolled: 1-line block ×4, first 2 shown]
	v_mul_u32_u24_sdwa v8, v132, s18 dst_sel:DWORD dst_unused:UNUSED_PAD src0_sel:WORD_0 src1_sel:DWORD
	v_lshrrev_b32_e32 v8, 18, v8
	v_mul_lo_u16_e32 v8, 0x41, v8
	v_sub_u16_e32 v101, v132, v8
	v_lshlrev_b32_e32 v8, 6, v101
	global_load_dwordx4 v[142:145], v8, s[8:9] offset:832
	global_load_dwordx4 v[146:149], v8, s[8:9] offset:848
	;; [unrolled: 1-line block ×4, first 2 shown]
	v_mul_u32_u24_sdwa v8, v127, s18 dst_sel:DWORD dst_unused:UNUSED_PAD src0_sel:WORD_0 src1_sel:DWORD
	v_lshrrev_b32_e32 v8, 18, v8
	v_mul_lo_u16_e32 v8, 0x41, v8
	v_sub_u16_e32 v103, v127, v8
	v_lshlrev_b32_e32 v12, 6, v103
	global_load_dwordx4 v[158:161], v12, s[8:9] offset:848
	global_load_dwordx4 v[162:165], v12, s[8:9] offset:832
	ds_read_b64 v[66:67], v129
	ds_read2_b64 v[86:89], v106 offset0:69 offset1:134
	ds_read2_b64 v[166:169], v107 offset0:73 offset1:138
	;; [unrolled: 1-line block ×5, first 2 shown]
	global_load_dwordx4 v[174:177], v12, s[8:9] offset:880
	global_load_dwordx4 v[178:181], v12, s[8:9] offset:864
	ds_read2_b64 v[94:97], v114 offset0:75 offset1:140
	ds_read2_b64 v[182:185], v115 offset0:85 offset1:150
	;; [unrolled: 1-line block ×7, first 2 shown]
	s_waitcnt lgkmcnt(0)
	s_barrier
	s_waitcnt vmcnt(15)
	v_mul_f64 v[80:81], v[86:87], v[70:71]
	v_fma_f64 v[124:125], v[52:53], v[68:69], -v[80:81]
	v_mul_f64 v[202:203], v[52:53], v[70:71]
	s_waitcnt vmcnt(14)
	v_mul_f64 v[52:53], v[168:169], v[74:75]
	v_fma_f64 v[52:53], v[26:27], v[72:73], -v[52:53]
	v_mul_f64 v[204:205], v[26:27], v[74:75]
	s_waitcnt vmcnt(13)
	v_mul_f64 v[26:27], v[90:91], v[62:63]
	v_fmac_f64_e32 v[204:205], v[168:169], v[72:73]
	v_fma_f64 v[168:169], v[48:49], v[60:61], -v[26:27]
	s_waitcnt vmcnt(12)
	v_mul_f64 v[26:27], v[172:173], v[58:59]
	v_fma_f64 v[208:209], v[18:19], v[56:57], -v[26:27]
	v_mul_f64 v[210:211], v[18:19], v[58:59]
	v_mul_f64 v[18:19], v[88:89], v[70:71]
	v_fmac_f64_e32 v[210:211], v[172:173], v[56:57]
	v_fma_f64 v[172:173], v[54:55], v[68:69], -v[18:19]
	v_mul_f64 v[18:19], v[94:95], v[74:75]
	v_fma_f64 v[214:215], v[44:45], v[72:73], -v[18:19]
	v_mul_f64 v[18:19], v[92:93], v[62:63]
	;; [unrolled: 2-line block ×3, first 2 shown]
	v_mul_f64 v[212:213], v[54:55], v[70:71]
	v_mul_f64 v[220:221], v[50:51], v[62:63]
	v_fma_f64 v[70:71], v[40:41], v[56:57], -v[18:19]
	s_waitcnt vmcnt(11)
	v_mul_f64 v[18:19], v[186:187], v[78:79]
	v_mul_f64 v[216:217], v[44:45], v[74:75]
	v_fmac_f64_e32 v[220:221], v[92:93], v[60:61]
	v_fma_f64 v[92:93], v[36:37], v[76:77], -v[18:19]
	s_waitcnt vmcnt(10)
	v_mul_f64 v[18:19], v[96:97], v[84:85]
	v_fmac_f64_e32 v[202:203], v[86:87], v[68:69]
	v_fmac_f64_e32 v[216:217], v[94:95], v[72:73]
	v_fma_f64 v[94:95], v[46:47], v[82:83], -v[18:19]
	v_mul_f64 v[86:87], v[46:47], v[84:85]
	s_waitcnt vmcnt(9)
	v_mul_f64 v[18:19], v[190:191], v[136:137]
	v_fmac_f64_e32 v[86:87], v[96:97], v[82:83]
	v_fma_f64 v[96:97], v[32:33], v[134:135], -v[18:19]
	s_waitcnt vmcnt(8)
	v_mul_f64 v[18:19], v[184:185], v[140:141]
	v_mul_f64 v[222:223], v[40:41], v[58:59]
	v_fma_f64 v[98:99], v[42:43], v[138:139], -v[18:19]
	s_waitcnt vmcnt(7)
	v_mul_f64 v[18:19], v[188:189], v[144:145]
	v_fmac_f64_e32 v[222:223], v[182:183], v[56:57]
	v_fma_f64 v[56:57], v[38:39], v[142:143], -v[18:19]
	s_waitcnt vmcnt(6)
	v_mul_f64 v[18:19], v[194:195], v[148:149]
	v_mul_f64 v[206:207], v[48:49], v[62:63]
	v_fma_f64 v[58:59], v[28:29], v[146:147], -v[18:19]
	s_waitcnt vmcnt(5)
	v_mul_f64 v[18:19], v[192:193], v[152:153]
	v_fmac_f64_e32 v[206:207], v[90:91], v[60:61]
	v_fma_f64 v[60:61], v[34:35], v[150:151], -v[18:19]
	s_waitcnt vmcnt(4)
	v_mul_f64 v[18:19], v[198:199], v[156:157]
	v_fma_f64 v[62:63], v[20:21], v[154:155], -v[18:19]
	s_waitcnt vmcnt(2)
	v_mul_f64 v[18:19], v[166:167], v[164:165]
	v_fmac_f64_e32 v[212:213], v[88:89], v[68:69]
	v_mul_f64 v[88:89], v[32:33], v[136:137]
	v_fma_f64 v[32:33], v[24:25], v[162:163], -v[18:19]
	v_mul_f64 v[18:19], v[24:25], v[164:165]
	s_waitcnt vmcnt(0)
	v_mul_f64 v[24:25], v[170:171], v[180:181]
	v_mul_f64 v[90:91], v[42:43], v[140:141]
	;; [unrolled: 1-line block ×3, first 2 shown]
	v_fma_f64 v[38:39], v[16:17], v[178:179], -v[24:25]
	v_mul_f64 v[26:27], v[16:17], v[180:181]
	v_mul_f64 v[16:17], v[200:201], v[176:177]
	v_fma_f64 v[40:41], v[22:23], v[174:175], -v[16:17]
	v_add_f64 v[16:17], v[64:65], v[124:125]
	v_add_f64 v[16:17], v[16:17], v[52:53]
	v_mul_f64 v[54:55], v[20:21], v[156:157]
	v_mul_f64 v[20:21], v[196:197], v[160:161]
	v_add_f64 v[16:17], v[16:17], v[168:169]
	v_mul_f64 v[46:47], v[34:35], v[152:153]
	v_fma_f64 v[34:35], v[30:31], v[158:159], -v[20:21]
	v_mul_f64 v[20:21], v[30:31], v[160:161]
	v_mul_f64 v[30:31], v[22:23], v[176:177]
	v_add_f64 v[22:23], v[16:17], v[208:209]
	v_add_f64 v[16:17], v[52:53], v[168:169]
	v_fma_f64 v[24:25], -0.5, v[16:17], v[64:65]
	v_add_f64 v[16:17], v[202:203], -v[210:211]
	v_mul_f64 v[80:81], v[36:37], v[78:79]
	v_mul_f64 v[44:45], v[28:29], v[148:149]
	v_fma_f64 v[28:29], s[0:1], v[16:17], v[24:25]
	v_add_f64 v[48:49], v[204:205], -v[206:207]
	v_add_f64 v[36:37], v[124:125], -v[52:53]
	;; [unrolled: 1-line block ×3, first 2 shown]
	v_fmac_f64_e32 v[24:25], s[12:13], v[16:17]
	v_fmac_f64_e32 v[28:29], s[4:5], v[48:49]
	v_add_f64 v[36:37], v[36:37], v[50:51]
	v_fmac_f64_e32 v[24:25], s[14:15], v[48:49]
	v_fmac_f64_e32 v[28:29], s[10:11], v[36:37]
	;; [unrolled: 1-line block ×3, first 2 shown]
	v_add_f64 v[36:37], v[124:125], v[208:209]
	v_fmac_f64_e32 v[64:65], -0.5, v[36:37]
	v_fma_f64 v[36:37], s[12:13], v[48:49], v[64:65]
	v_add_f64 v[50:51], v[52:53], -v[124:125]
	v_add_f64 v[68:69], v[168:169], -v[208:209]
	v_fmac_f64_e32 v[64:65], s[0:1], v[48:49]
	v_add_f64 v[48:49], v[204:205], v[206:207]
	v_fmac_f64_e32 v[36:37], s[4:5], v[16:17]
	v_add_f64 v[50:51], v[50:51], v[68:69]
	v_fmac_f64_e32 v[64:65], s[14:15], v[16:17]
	v_fma_f64 v[48:49], -0.5, v[48:49], v[66:67]
	v_add_f64 v[68:69], v[124:125], -v[208:209]
	v_fmac_f64_e32 v[36:37], s[10:11], v[50:51]
	v_fmac_f64_e32 v[64:65], s[10:11], v[50:51]
	v_fma_f64 v[50:51], s[12:13], v[68:69], v[48:49]
	v_add_f64 v[72:73], v[52:53], -v[168:169]
	v_add_f64 v[52:53], v[202:203], -v[204:205]
	;; [unrolled: 1-line block ×3, first 2 shown]
	v_fmac_f64_e32 v[48:49], s[0:1], v[68:69]
	v_fmac_f64_e32 v[50:51], s[14:15], v[72:73]
	v_add_f64 v[52:53], v[52:53], v[74:75]
	v_fmac_f64_e32 v[48:49], s[4:5], v[72:73]
	v_fmac_f64_e32 v[50:51], s[10:11], v[52:53]
	;; [unrolled: 1-line block ×3, first 2 shown]
	v_add_f64 v[52:53], v[202:203], v[210:211]
	v_add_f64 v[16:17], v[66:67], v[202:203]
	v_fmac_f64_e32 v[66:67], -0.5, v[52:53]
	v_fma_f64 v[52:53], s[0:1], v[72:73], v[66:67]
	v_fmac_f64_e32 v[66:67], s[12:13], v[72:73]
	v_fmac_f64_e32 v[52:53], s[14:15], v[68:69]
	;; [unrolled: 1-line block ×3, first 2 shown]
	v_add_f64 v[68:69], v[4:5], v[172:173]
	v_add_f64 v[68:69], v[68:69], v[214:215]
	v_fmac_f64_e32 v[80:81], v[186:187], v[76:77]
	v_add_f64 v[74:75], v[204:205], -v[202:203]
	v_add_f64 v[76:77], v[206:207], -v[210:211]
	v_add_f64 v[68:69], v[68:69], v[218:219]
	v_add_f64 v[74:75], v[74:75], v[76:77]
	;; [unrolled: 1-line block ×4, first 2 shown]
	v_fmac_f64_e32 v[52:53], s[10:11], v[74:75]
	v_fmac_f64_e32 v[66:67], s[10:11], v[74:75]
	v_fma_f64 v[74:75], -0.5, v[68:69], v[4:5]
	v_add_f64 v[68:69], v[212:213], -v[222:223]
	v_fma_f64 v[76:77], s[0:1], v[68:69], v[74:75]
	v_add_f64 v[84:85], v[216:217], -v[220:221]
	v_add_f64 v[78:79], v[172:173], -v[214:215]
	;; [unrolled: 1-line block ×3, first 2 shown]
	v_fmac_f64_e32 v[74:75], s[12:13], v[68:69]
	v_fmac_f64_e32 v[76:77], s[4:5], v[84:85]
	v_add_f64 v[78:79], v[78:79], v[82:83]
	v_fmac_f64_e32 v[74:75], s[14:15], v[84:85]
	v_fmac_f64_e32 v[76:77], s[10:11], v[78:79]
	;; [unrolled: 1-line block ×3, first 2 shown]
	v_add_f64 v[78:79], v[172:173], v[70:71]
	v_fma_f64 v[78:79], -0.5, v[78:79], v[4:5]
	v_fma_f64 v[82:83], s[12:13], v[84:85], v[78:79]
	v_fmac_f64_e32 v[78:79], s[0:1], v[84:85]
	v_fmac_f64_e32 v[82:83], s[4:5], v[68:69]
	v_add_f64 v[4:5], v[214:215], -v[172:173]
	v_add_f64 v[124:125], v[218:219], -v[70:71]
	v_fmac_f64_e32 v[78:79], s[14:15], v[68:69]
	v_add_f64 v[68:69], v[216:217], v[220:221]
	v_add_f64 v[4:5], v[4:5], v[124:125]
	v_fma_f64 v[68:69], -0.5, v[68:69], v[8:9]
	v_add_f64 v[124:125], v[172:173], -v[70:71]
	v_fmac_f64_e32 v[88:89], v[190:191], v[134:135]
	v_fma_f64 v[70:71], s[12:13], v[124:125], v[68:69]
	v_add_f64 v[134:135], v[214:215], -v[218:219]
	v_add_f64 v[84:85], v[212:213], -v[216:217]
	v_add_f64 v[136:137], v[222:223], -v[220:221]
	v_fmac_f64_e32 v[68:69], s[0:1], v[124:125]
	v_fmac_f64_e32 v[70:71], s[14:15], v[134:135]
	v_add_f64 v[84:85], v[84:85], v[136:137]
	v_fmac_f64_e32 v[68:69], s[4:5], v[134:135]
	v_fmac_f64_e32 v[70:71], s[10:11], v[84:85]
	;; [unrolled: 1-line block ×3, first 2 shown]
	v_add_f64 v[84:85], v[212:213], v[222:223]
	v_fmac_f64_e32 v[82:83], s[10:11], v[4:5]
	v_fmac_f64_e32 v[78:79], s[10:11], v[4:5]
	v_add_f64 v[4:5], v[8:9], v[212:213]
	v_fma_f64 v[8:9], -0.5, v[84:85], v[8:9]
	v_fmac_f64_e32 v[90:91], v[184:185], v[138:139]
	v_fma_f64 v[84:85], s[0:1], v[134:135], v[8:9]
	v_add_f64 v[136:137], v[216:217], -v[212:213]
	v_add_f64 v[138:139], v[220:221], -v[222:223]
	v_fmac_f64_e32 v[8:9], s[12:13], v[134:135]
	v_fmac_f64_e32 v[84:85], s[14:15], v[124:125]
	v_add_f64 v[136:137], v[136:137], v[138:139]
	v_fmac_f64_e32 v[8:9], s[4:5], v[124:125]
	v_add_f64 v[134:135], v[94:95], v[96:97]
	v_fmac_f64_e32 v[84:85], s[10:11], v[136:137]
	v_fmac_f64_e32 v[8:9], s[10:11], v[136:137]
	v_fma_f64 v[134:135], -0.5, v[134:135], v[6:7]
	v_add_f64 v[136:137], v[80:81], -v[90:91]
	v_fmac_f64_e32 v[42:43], v[188:189], v[142:143]
	v_fma_f64 v[138:139], s[0:1], v[136:137], v[134:135]
	v_add_f64 v[140:141], v[86:87], -v[88:89]
	v_add_f64 v[142:143], v[92:93], -v[94:95]
	;; [unrolled: 1-line block ×3, first 2 shown]
	v_fmac_f64_e32 v[134:135], s[12:13], v[136:137]
	v_fmac_f64_e32 v[138:139], s[4:5], v[140:141]
	v_add_f64 v[142:143], v[142:143], v[144:145]
	v_fmac_f64_e32 v[134:135], s[14:15], v[140:141]
	v_fmac_f64_e32 v[138:139], s[10:11], v[142:143]
	;; [unrolled: 1-line block ×3, first 2 shown]
	v_add_f64 v[142:143], v[92:93], v[98:99]
	v_add_f64 v[124:125], v[6:7], v[92:93]
	v_fmac_f64_e32 v[6:7], -0.5, v[142:143]
	v_fmac_f64_e32 v[44:45], v[194:195], v[146:147]
	v_add_f64 v[124:125], v[124:125], v[94:95]
	v_fma_f64 v[142:143], s[12:13], v[140:141], v[6:7]
	v_add_f64 v[144:145], v[94:95], -v[92:93]
	v_add_f64 v[146:147], v[96:97], -v[98:99]
	v_fmac_f64_e32 v[6:7], s[0:1], v[140:141]
	v_add_f64 v[140:141], v[86:87], v[88:89]
	v_add_f64 v[124:125], v[124:125], v[96:97]
	v_fmac_f64_e32 v[142:143], s[4:5], v[136:137]
	v_add_f64 v[144:145], v[144:145], v[146:147]
	v_fmac_f64_e32 v[6:7], s[14:15], v[136:137]
	v_fma_f64 v[140:141], -0.5, v[140:141], v[10:11]
	v_add_f64 v[92:93], v[92:93], -v[98:99]
	v_add_f64 v[124:125], v[124:125], v[98:99]
	v_fmac_f64_e32 v[142:143], s[10:11], v[144:145]
	v_fmac_f64_e32 v[6:7], s[10:11], v[144:145]
	v_fma_f64 v[98:99], s[12:13], v[92:93], v[140:141]
	v_add_f64 v[94:95], v[94:95], -v[96:97]
	v_add_f64 v[96:97], v[80:81], -v[86:87]
	;; [unrolled: 1-line block ×3, first 2 shown]
	v_fmac_f64_e32 v[140:141], s[0:1], v[92:93]
	v_add_f64 v[136:137], v[10:11], v[80:81]
	v_fmac_f64_e32 v[98:99], s[14:15], v[94:95]
	v_add_f64 v[96:97], v[96:97], v[144:145]
	;; [unrolled: 2-line block ×3, first 2 shown]
	v_fmac_f64_e32 v[98:99], s[10:11], v[96:97]
	v_fmac_f64_e32 v[140:141], s[10:11], v[96:97]
	v_add_f64 v[96:97], v[80:81], v[90:91]
	v_add_f64 v[80:81], v[86:87], -v[80:81]
	v_add_f64 v[86:87], v[88:89], -v[90:91]
	v_fmac_f64_e32 v[54:55], v[198:199], v[154:155]
	v_fmac_f64_e32 v[10:11], -0.5, v[96:97]
	v_add_f64 v[80:81], v[80:81], v[86:87]
	v_add_f64 v[86:87], v[58:59], v[60:61]
	v_fmac_f64_e32 v[46:47], v[192:193], v[150:151]
	v_add_f64 v[136:137], v[136:137], v[88:89]
	v_fma_f64 v[96:97], s[0:1], v[94:95], v[10:11]
	v_fmac_f64_e32 v[10:11], s[12:13], v[94:95]
	v_fma_f64 v[86:87], -0.5, v[86:87], v[0:1]
	v_add_f64 v[88:89], v[42:43], -v[54:55]
	v_add_f64 v[136:137], v[136:137], v[90:91]
	v_fmac_f64_e32 v[96:97], s[14:15], v[92:93]
	v_fmac_f64_e32 v[10:11], s[4:5], v[92:93]
	v_fma_f64 v[90:91], s[0:1], v[88:89], v[86:87]
	v_add_f64 v[92:93], v[44:45], -v[46:47]
	v_add_f64 v[94:95], v[56:57], -v[58:59]
	;; [unrolled: 1-line block ×3, first 2 shown]
	v_fmac_f64_e32 v[86:87], s[12:13], v[88:89]
	v_fmac_f64_e32 v[90:91], s[4:5], v[92:93]
	v_add_f64 v[94:95], v[94:95], v[144:145]
	v_fmac_f64_e32 v[86:87], s[14:15], v[92:93]
	v_fmac_f64_e32 v[90:91], s[10:11], v[94:95]
	;; [unrolled: 1-line block ×3, first 2 shown]
	v_add_f64 v[94:95], v[56:57], v[62:63]
	v_fmac_f64_e32 v[96:97], s[10:11], v[80:81]
	v_fmac_f64_e32 v[10:11], s[10:11], v[80:81]
	v_add_f64 v[80:81], v[0:1], v[56:57]
	v_fma_f64 v[0:1], -0.5, v[94:95], v[0:1]
	v_add_f64 v[80:81], v[80:81], v[58:59]
	v_fma_f64 v[94:95], s[12:13], v[92:93], v[0:1]
	v_add_f64 v[144:145], v[58:59], -v[56:57]
	v_add_f64 v[146:147], v[60:61], -v[62:63]
	v_fmac_f64_e32 v[0:1], s[0:1], v[92:93]
	v_add_f64 v[92:93], v[44:45], v[46:47]
	v_add_f64 v[80:81], v[80:81], v[60:61]
	v_fmac_f64_e32 v[94:95], s[4:5], v[88:89]
	v_add_f64 v[144:145], v[144:145], v[146:147]
	v_fmac_f64_e32 v[0:1], s[14:15], v[88:89]
	v_fma_f64 v[92:93], -0.5, v[92:93], v[12:13]
	v_add_f64 v[56:57], v[56:57], -v[62:63]
	v_add_f64 v[80:81], v[80:81], v[62:63]
	v_fmac_f64_e32 v[94:95], s[10:11], v[144:145]
	v_fmac_f64_e32 v[0:1], s[10:11], v[144:145]
	v_fma_f64 v[144:145], s[12:13], v[56:57], v[92:93]
	v_add_f64 v[58:59], v[58:59], -v[60:61]
	v_add_f64 v[60:61], v[42:43], -v[44:45]
	;; [unrolled: 1-line block ×3, first 2 shown]
	v_fmac_f64_e32 v[92:93], s[0:1], v[56:57]
	v_add_f64 v[88:89], v[12:13], v[42:43]
	v_fmac_f64_e32 v[144:145], s[14:15], v[58:59]
	v_add_f64 v[60:61], v[60:61], v[62:63]
	;; [unrolled: 2-line block ×3, first 2 shown]
	v_fmac_f64_e32 v[144:145], s[10:11], v[60:61]
	v_fmac_f64_e32 v[92:93], s[10:11], v[60:61]
	v_add_f64 v[60:61], v[42:43], v[54:55]
	v_add_f64 v[42:43], v[44:45], -v[42:43]
	v_add_f64 v[44:45], v[46:47], -v[54:55]
	v_fmac_f64_e32 v[18:19], v[166:167], v[162:163]
	v_fmac_f64_e32 v[30:31], v[200:201], v[174:175]
	v_fma_f64 v[12:13], -0.5, v[60:61], v[12:13]
	v_add_f64 v[42:43], v[42:43], v[44:45]
	v_add_f64 v[44:45], v[34:35], v[38:39]
	v_fmac_f64_e32 v[20:21], v[196:197], v[158:159]
	v_fmac_f64_e32 v[26:27], v[170:171], v[178:179]
	v_add_f64 v[88:89], v[88:89], v[46:47]
	v_fma_f64 v[146:147], s[0:1], v[58:59], v[12:13]
	v_fmac_f64_e32 v[12:13], s[12:13], v[58:59]
	v_fma_f64 v[44:45], -0.5, v[44:45], v[2:3]
	v_add_f64 v[46:47], v[18:19], -v[30:31]
	v_add_f64 v[88:89], v[88:89], v[54:55]
	v_fmac_f64_e32 v[146:147], s[14:15], v[56:57]
	v_fmac_f64_e32 v[12:13], s[4:5], v[56:57]
	v_fma_f64 v[54:55], s[0:1], v[46:47], v[44:45]
	v_add_f64 v[56:57], v[20:21], -v[26:27]
	v_add_f64 v[58:59], v[32:33], -v[34:35]
	;; [unrolled: 1-line block ×3, first 2 shown]
	v_fmac_f64_e32 v[44:45], s[12:13], v[46:47]
	v_fmac_f64_e32 v[54:55], s[4:5], v[56:57]
	v_add_f64 v[58:59], v[58:59], v[60:61]
	v_fmac_f64_e32 v[44:45], s[14:15], v[56:57]
	v_fmac_f64_e32 v[54:55], s[10:11], v[58:59]
	;; [unrolled: 1-line block ×3, first 2 shown]
	v_add_f64 v[58:59], v[32:33], v[40:41]
	v_fmac_f64_e32 v[146:147], s[10:11], v[42:43]
	v_fmac_f64_e32 v[12:13], s[10:11], v[42:43]
	v_add_f64 v[42:43], v[2:3], v[32:33]
	v_fmac_f64_e32 v[2:3], -0.5, v[58:59]
	v_fma_f64 v[58:59], s[12:13], v[56:57], v[2:3]
	v_fmac_f64_e32 v[2:3], s[0:1], v[56:57]
	v_fmac_f64_e32 v[58:59], s[4:5], v[46:47]
	;; [unrolled: 1-line block ×3, first 2 shown]
	v_add_f64 v[46:47], v[14:15], v[18:19]
	v_add_f64 v[46:47], v[46:47], v[20:21]
	v_add_f64 v[46:47], v[46:47], v[26:27]
	v_add_f64 v[42:43], v[42:43], v[34:35]
	v_add_f64 v[148:149], v[46:47], v[30:31]
	v_add_f64 v[46:47], v[20:21], v[26:27]
	v_add_f64 v[42:43], v[42:43], v[38:39]
	v_add_f64 v[60:61], v[34:35], -v[32:33]
	v_fma_f64 v[150:151], -0.5, v[46:47], v[14:15]
	v_add_f64 v[32:33], v[32:33], -v[40:41]
	v_add_f64 v[42:43], v[42:43], v[40:41]
	v_add_f64 v[62:63], v[38:39], -v[40:41]
	v_fma_f64 v[152:153], s[12:13], v[32:33], v[150:151]
	v_add_f64 v[34:35], v[34:35], -v[38:39]
	v_add_f64 v[38:39], v[18:19], -v[20:21]
	;; [unrolled: 1-line block ×3, first 2 shown]
	v_fmac_f64_e32 v[150:151], s[0:1], v[32:33]
	v_fmac_f64_e32 v[152:153], s[14:15], v[34:35]
	v_add_f64 v[38:39], v[38:39], v[40:41]
	v_fmac_f64_e32 v[150:151], s[4:5], v[34:35]
	v_fmac_f64_e32 v[152:153], s[10:11], v[38:39]
	v_fmac_f64_e32 v[150:151], s[10:11], v[38:39]
	v_add_f64 v[38:39], v[18:19], v[30:31]
	v_fmac_f64_e32 v[14:15], -0.5, v[38:39]
	v_fma_f64 v[154:155], s[0:1], v[34:35], v[14:15]
	v_add_f64 v[18:19], v[20:21], -v[18:19]
	v_add_f64 v[20:21], v[26:27], -v[30:31]
	v_fmac_f64_e32 v[14:15], s[12:13], v[34:35]
	v_fmac_f64_e32 v[154:155], s[14:15], v[32:33]
	v_add_f64 v[18:19], v[18:19], v[20:21]
	v_fmac_f64_e32 v[14:15], s[4:5], v[32:33]
	v_fmac_f64_e32 v[154:155], s[10:11], v[18:19]
	;; [unrolled: 1-line block ×3, first 2 shown]
	v_lshlrev_b32_sdwa v18, v102, v100 dst_sel:DWORD dst_unused:UNUSED_PAD src0_sel:DWORD src1_sel:BYTE_0
	v_add3_u32 v18, 0, v18, v113
	ds_write2_b64 v130, v[22:23], v[28:29] offset1:65
	ds_write2_b64 v130, v[36:37], v[64:65] offset0:130 offset1:195
	ds_write2_b64 v106, v[24:25], v[72:73] offset0:4 offset1:69
	;; [unrolled: 1-line block ×4, first 2 shown]
	v_add_u32_e32 v19, 0x1000, v18
	v_add_u32_e32 v64, 0x1800, v18
	ds_write2_b64 v19, v[124:125], v[138:139] offset0:138 offset1:203
	ds_write2_b64 v64, v[142:143], v[6:7] offset0:12 offset1:77
	ds_write_b64 v18, v[134:135] offset:7280
	v_lshlrev_b32_e32 v6, 3, v101
	v_add3_u32 v6, 0, v6, v113
	v_add_u32_e32 v7, 0x1c00, v6
	v_add_u32_e32 v65, 0x2000, v6
	ds_write2_b64 v7, v[80:81], v[90:91] offset0:79 offset1:144
	ds_write2_b64 v65, v[94:95], v[0:1] offset0:81 offset1:146
	ds_write_b64 v6, v[86:87] offset:9880
	v_lshlrev_b32_e32 v0, 3, v103
	v_add_f64 v[60:61], v[60:61], v[62:63]
	v_add3_u32 v0, 0, v0, v113
	v_fmac_f64_e32 v[58:59], s[10:11], v[60:61]
	v_add_u32_e32 v1, 0x2800, v0
	v_fmac_f64_e32 v[2:3], s[10:11], v[60:61]
	ds_write2_b64 v1, v[42:43], v[54:55] offset0:20 offset1:85
	ds_write2_b64 v1, v[58:59], v[2:3] offset0:150 offset1:215
	ds_write_b64 v0, v[44:45] offset:12480
	s_waitcnt lgkmcnt(0)
	s_barrier
	ds_read_b64 v[124:125], v129
	ds_read2_b64 v[32:35], v106 offset0:69 offset1:134
	ds_read2_b64 v[24:27], v107 offset0:73 offset1:138
	;; [unrolled: 1-line block ×12, first 2 shown]
	v_add_f64 v[16:17], v[16:17], v[204:205]
	v_add_f64 v[16:17], v[16:17], v[206:207]
	;; [unrolled: 1-line block ×6, first 2 shown]
	s_waitcnt lgkmcnt(0)
	s_barrier
	ds_write2_b64 v130, v[16:17], v[50:51] offset1:65
	ds_write2_b64 v130, v[52:53], v[66:67] offset0:130 offset1:195
	ds_write2_b64 v106, v[48:49], v[4:5] offset0:4 offset1:69
	;; [unrolled: 1-line block ×6, first 2 shown]
	ds_write_b64 v18, v[140:141] offset:7280
	ds_write2_b64 v7, v[88:89], v[144:145] offset0:79 offset1:144
	ds_write2_b64 v65, v[146:147], v[12:13] offset0:81 offset1:146
	ds_write_b64 v6, v[92:93] offset:9880
	ds_write2_b64 v1, v[148:149], v[152:153] offset0:20 offset1:85
	ds_write2_b64 v1, v[154:155], v[14:15] offset0:150 offset1:215
	ds_write_b64 v0, v[150:151] offset:12480
	s_waitcnt lgkmcnt(0)
	s_barrier
	s_and_saveexec_b64 s[18:19], vcc
	s_cbranch_execz .LBB0_21
; %bb.20:
	v_lshlrev_b32_e32 v108, 2, v127
	v_lshl_add_u64 v[8:9], v[108:109], 4, s[8:9]
	s_mov_b64 s[18:19], 0x1380
	v_lshl_add_u64 v[16:17], v[8:9], 0, s[18:19]
	v_add_co_u32_e32 v18, vcc, 0x1000, v8
	global_load_dwordx4 v[0:3], v[16:17], off offset:32
	global_load_dwordx4 v[4:7], v[16:17], off offset:16
	v_addc_co_u32_e32 v19, vcc, 0, v9, vcc
	global_load_dwordx4 v[8:11], v[18:19], off offset:896
	global_load_dwordx4 v[12:15], v[16:17], off offset:48
	v_mul_lo_u32 v16, s3, v104
	v_mul_lo_u32 v17, s2, v105
	v_mad_u64_u32 v[126:127], s[2:3], s2, v104, 0
	v_lshlrev_b32_e32 v108, 2, v132
	v_add_u32_e32 v18, 0x1800, v130
	s_movk_i32 s2, 0x1000
	v_add_u32_e32 v19, 0x1000, v130
	v_add_u32_e32 v52, 0x2400, v130
	;; [unrolled: 1-line block ×3, first 2 shown]
	v_add3_u32 v127, v127, v17, v16
	v_lshl_add_u64 v[16:17], v[108:109], 4, s[8:9]
	ds_read2_b64 v[64:67], v18 offset0:77 offset1:142
	ds_read2_b64 v[48:51], v19 offset0:73 offset1:138
	;; [unrolled: 1-line block ×4, first 2 shown]
	v_lshl_add_u64 v[18:19], v[16:17], 0, s[18:19]
	v_add_co_u32_e32 v16, vcc, s2, v16
	v_add_u32_e32 v84, 0x400, v130
	s_nop 0
	v_addc_co_u32_e32 v17, vcc, 0, v17, vcc
	global_load_dwordx4 v[88:91], v[18:19], off offset:32
	global_load_dwordx4 v[92:95], v[18:19], off offset:16
	ds_read2_b64 v[84:87], v84 offset0:67 offset1:132
	global_load_dwordx4 v[100:103], v[16:17], off offset:896
	global_load_dwordx4 v[96:99], v[18:19], off offset:48
	v_lshlrev_b32_e32 v108, 2, v131
	s_waitcnt vmcnt(7)
	v_mul_f64 v[18:19], v[28:29], v[2:3]
	s_waitcnt vmcnt(6)
	v_mul_f64 v[16:17], v[58:59], v[6:7]
	s_waitcnt lgkmcnt(4)
	v_mul_f64 v[6:7], v[66:67], v[6:7]
	s_waitcnt lgkmcnt(2)
	v_mul_f64 v[2:3], v[52:53], v[2:3]
	v_fmac_f64_e32 v[16:17], v[66:67], v[4:5]
	s_waitcnt vmcnt(5)
	v_mul_f64 v[66:67], v[24:25], v[10:11]
	v_fmac_f64_e32 v[18:19], v[52:53], v[0:1]
	s_waitcnt vmcnt(4)
	v_mul_f64 v[52:53], v[62:63], v[14:15]
	v_mul_f64 v[10:11], v[48:49], v[10:11]
	s_waitcnt lgkmcnt(1)
	v_mul_f64 v[14:15], v[70:71], v[14:15]
	v_fma_f64 v[28:29], v[28:29], v[0:1], -v[2:3]
	v_fmac_f64_e32 v[66:67], v[48:49], v[8:9]
	v_fmac_f64_e32 v[52:53], v[70:71], v[12:13]
	v_fma_f64 v[24:25], v[24:25], v[8:9], -v[10:11]
	v_fma_f64 v[48:49], v[62:63], v[12:13], -v[14:15]
	v_add_f64 v[2:3], v[16:17], v[18:19]
	v_fma_f64 v[58:59], v[58:59], v[4:5], -v[6:7]
	v_add_f64 v[12:13], v[24:25], -v[48:49]
	v_add_f64 v[8:9], v[66:67], v[52:53]
	s_waitcnt lgkmcnt(0)
	v_fma_f64 v[14:15], -0.5, v[2:3], v[86:87]
	v_add_f64 v[106:107], v[66:67], v[86:87]
	v_add_f64 v[0:1], v[58:59], -v[28:29]
	v_add_f64 v[62:63], v[16:17], -v[18:19]
	;; [unrolled: 1-line block ×5, first 2 shown]
	v_fma_f64 v[10:11], -0.5, v[8:9], v[86:87]
	v_fma_f64 v[2:3], s[0:1], v[12:13], v[14:15]
	v_fmac_f64_e32 v[14:15], s[12:13], v[12:13]
	v_add_f64 v[16:17], v[16:17], v[106:107]
	v_add_f64 v[4:5], v[4:5], v[6:7]
	v_fma_f64 v[6:7], s[12:13], v[0:1], v[10:11]
	v_fmac_f64_e32 v[10:11], s[0:1], v[0:1]
	v_fmac_f64_e32 v[2:3], s[4:5], v[0:1]
	;; [unrolled: 1-line block ×3, first 2 shown]
	v_add_f64 v[0:1], v[18:19], v[16:17]
	v_add_f64 v[104:105], v[52:53], -v[18:19]
	v_add_f64 v[116:117], v[24:25], v[48:49]
	v_fmac_f64_e32 v[6:7], s[4:5], v[12:13]
	v_fmac_f64_e32 v[10:11], s[14:15], v[12:13]
	v_add_f64 v[18:19], v[52:53], v[0:1]
	v_add_f64 v[0:1], v[24:25], -v[58:59]
	v_add_f64 v[12:13], v[48:49], -v[28:29]
	v_fma_f64 v[8:9], -0.5, v[116:117], v[74:75]
	v_add_f64 v[16:17], v[66:67], -v[52:53]
	v_add_f64 v[52:53], v[0:1], v[12:13]
	v_add_f64 v[0:1], v[58:59], v[28:29]
	v_fmac_f64_e32 v[6:7], s[10:11], v[4:5]
	v_fmac_f64_e32 v[10:11], s[10:11], v[4:5]
	v_fma_f64 v[4:5], s[0:1], v[62:63], v[8:9]
	v_fmac_f64_e32 v[8:9], s[12:13], v[62:63]
	v_fma_f64 v[12:13], -0.5, v[0:1], v[74:75]
	v_fmac_f64_e32 v[4:5], s[14:15], v[16:17]
	v_fmac_f64_e32 v[8:9], s[4:5], v[16:17]
	v_fma_f64 v[0:1], s[12:13], v[16:17], v[12:13]
	v_fmac_f64_e32 v[12:13], s[0:1], v[16:17]
	v_add_f64 v[16:17], v[74:75], v[24:25]
	v_add_f64 v[16:17], v[58:59], v[16:17]
	v_add_f64 v[114:115], v[28:29], -v[48:49]
	v_add_f64 v[16:17], v[16:17], v[28:29]
	v_lshl_add_u64 v[28:29], v[108:109], 4, s[8:9]
	v_add_f64 v[16:17], v[16:17], v[48:49]
	v_lshl_add_u64 v[48:49], v[28:29], 0, s[18:19]
	v_add_co_u32_e32 v28, vcc, s2, v28
	v_add_f64 v[112:113], v[58:59], -v[24:25]
	s_nop 0
	v_addc_co_u32_e32 v29, vcc, 0, v29, vcc
	v_add_f64 v[70:71], v[70:71], v[104:105]
	v_add_f64 v[86:87], v[112:113], v[114:115]
	global_load_dwordx4 v[104:107], v[48:49], off offset:32
	global_load_dwordx4 v[112:115], v[48:49], off offset:16
	;; [unrolled: 1-line block ×4, first 2 shown]
	v_fmac_f64_e32 v[0:1], s[14:15], v[62:63]
	v_fmac_f64_e32 v[12:13], s[4:5], v[62:63]
	;; [unrolled: 1-line block ×4, first 2 shown]
	v_add_u32_e32 v52, 0xc00, v130
	ds_read2_b64 v[136:139], v52 offset0:71 offset1:136
	v_add_u32_e32 v52, 0x2000, v130
	ds_read2_b64 v[140:143], v52 offset0:81 offset1:146
	v_fmac_f64_e32 v[4:5], s[10:11], v[86:87]
	v_fmac_f64_e32 v[8:9], s[10:11], v[86:87]
	s_waitcnt vmcnt(6)
	v_mul_f64 v[24:25], v[56:57], v[94:95]
	s_waitcnt vmcnt(5)
	v_mul_f64 v[28:29], v[82:83], v[102:103]
	v_mul_f64 v[52:53], v[78:79], v[90:91]
	s_waitcnt vmcnt(4)
	v_mul_f64 v[86:87], v[60:61], v[98:99]
	v_fmac_f64_e32 v[24:25], v[64:65], v[92:93]
	s_waitcnt lgkmcnt(1)
	v_fmac_f64_e32 v[28:29], v[138:139], v[100:101]
	s_waitcnt lgkmcnt(0)
	v_fmac_f64_e32 v[52:53], v[142:143], v[88:89]
	v_fmac_f64_e32 v[86:87], v[68:69], v[96:97]
	v_add_f64 v[48:49], v[24:25], -v[28:29]
	v_add_f64 v[58:59], v[52:53], -v[86:87]
	v_add_f64 v[48:49], v[48:49], v[58:59]
	v_mul_f64 v[58:59], v[138:139], v[102:103]
	v_fma_f64 v[82:83], v[82:83], v[100:101], -v[58:59]
	v_mul_f64 v[58:59], v[68:69], v[98:99]
	v_fma_f64 v[96:97], v[60:61], v[96:97], -v[58:59]
	v_add_f64 v[58:59], v[28:29], v[86:87]
	v_fma_f64 v[66:67], -0.5, v[58:59], v[84:85]
	v_mul_f64 v[58:59], v[64:65], v[94:95]
	v_fma_f64 v[98:99], v[56:57], v[92:93], -v[58:59]
	v_mul_f64 v[56:57], v[142:143], v[90:91]
	v_fma_f64 v[78:79], v[78:79], v[88:89], -v[56:57]
	v_add_f64 v[56:57], v[98:99], -v[78:79]
	v_add_f64 v[60:61], v[82:83], -v[96:97]
	v_fma_f64 v[62:63], s[12:13], v[56:57], v[66:67]
	v_fmac_f64_e32 v[66:67], s[0:1], v[56:57]
	v_fmac_f64_e32 v[62:63], s[4:5], v[60:61]
	;; [unrolled: 1-line block ×5, first 2 shown]
	v_add_f64 v[48:49], v[28:29], -v[24:25]
	v_add_f64 v[58:59], v[86:87], -v[52:53]
	v_add_f64 v[48:49], v[48:49], v[58:59]
	v_add_f64 v[58:59], v[24:25], v[52:53]
	v_fmac_f64_e32 v[2:3], s[10:11], v[70:71]
	v_fmac_f64_e32 v[14:15], s[10:11], v[70:71]
	v_fma_f64 v[70:71], -0.5, v[58:59], v[84:85]
	v_fma_f64 v[58:59], s[0:1], v[60:61], v[70:71]
	v_fmac_f64_e32 v[70:71], s[12:13], v[60:61]
	v_fmac_f64_e32 v[58:59], s[4:5], v[56:57]
	;; [unrolled: 1-line block ×5, first 2 shown]
	v_add_f64 v[48:49], v[28:29], v[84:85]
	v_add_f64 v[48:49], v[24:25], v[48:49]
	;; [unrolled: 1-line block ×4, first 2 shown]
	v_add_f64 v[48:49], v[98:99], -v[82:83]
	v_add_f64 v[56:57], v[78:79], -v[96:97]
	v_add_f64 v[48:49], v[48:49], v[56:57]
	v_add_f64 v[56:57], v[82:83], v[96:97]
	v_fma_f64 v[64:65], -0.5, v[56:57], v[72:73]
	v_add_f64 v[24:25], v[24:25], -v[52:53]
	v_fma_f64 v[60:61], s[0:1], v[24:25], v[64:65]
	v_add_f64 v[28:29], v[28:29], -v[86:87]
	v_fmac_f64_e32 v[64:65], s[12:13], v[24:25]
	v_fmac_f64_e32 v[60:61], s[14:15], v[28:29]
	;; [unrolled: 1-line block ×5, first 2 shown]
	v_add_f64 v[48:49], v[82:83], -v[98:99]
	v_add_f64 v[52:53], v[96:97], -v[78:79]
	v_add_f64 v[48:49], v[48:49], v[52:53]
	v_add_f64 v[52:53], v[98:99], v[78:79]
	v_fma_f64 v[68:69], -0.5, v[52:53], v[72:73]
	v_fma_f64 v[56:57], s[12:13], v[28:29], v[68:69]
	v_fmac_f64_e32 v[68:69], s[0:1], v[28:29]
	v_fmac_f64_e32 v[56:57], s[14:15], v[24:25]
	;; [unrolled: 1-line block ×3, first 2 shown]
	v_add_f64 v[24:25], v[72:73], v[82:83]
	v_add_f64 v[24:25], v[98:99], v[24:25]
	;; [unrolled: 1-line block ×3, first 2 shown]
	v_add_u32_e32 v78, 0x2800, v130
	v_lshlrev_b32_e32 v108, 2, v110
	v_add_f64 v[72:73], v[24:25], v[96:97]
	ds_read2_b64 v[96:99], v78 offset0:85 offset1:150
	v_lshl_add_u64 v[78:79], v[108:109], 4, s[8:9]
	v_add_u32_e32 v28, 0x1400, v130
	v_lshl_add_u64 v[82:83], v[78:79], 0, s[18:19]
	ds_read2_b64 v[92:95], v28 offset0:75 offset1:140
	global_load_dwordx4 v[108:111], v[82:83], off offset:32
	global_load_dwordx4 v[116:119], v[82:83], off offset:16
	v_add_co_u32_e32 v78, vcc, s2, v78
	ds_read2_b64 v[100:103], v130 offset0:65 offset1:130
	s_nop 0
	v_addc_co_u32_e32 v79, vcc, 0, v79, vcc
	s_waitcnt vmcnt(3)
	v_mul_f64 v[28:29], v[80:81], v[134:135]
	s_waitcnt vmcnt(2)
	v_mul_f64 v[84:85], v[46:47], v[146:147]
	global_load_dwordx4 v[148:151], v[78:79], off offset:896
	v_mul_f64 v[78:79], v[136:137], v[134:135]
	v_fmac_f64_e32 v[28:29], v[136:137], v[132:133]
	s_waitcnt lgkmcnt(2)
	v_fmac_f64_e32 v[84:85], v[98:99], v[144:145]
	v_fma_f64 v[88:89], v[80:81], v[132:133], -v[78:79]
	v_mul_f64 v[78:79], v[98:99], v[146:147]
	global_load_dwordx4 v[132:135], v[82:83], off offset:48
	v_fma_f64 v[98:99], v[46:47], v[144:145], -v[78:79]
	v_add_f64 v[78:79], v[28:29], v[84:85]
	s_waitcnt lgkmcnt(0)
	v_fma_f64 v[82:83], -0.5, v[78:79], v[102:103]
	v_mul_f64 v[78:79], v[94:95], v[114:115]
	v_mul_f64 v[24:25], v[42:43], v[114:115]
	v_fma_f64 v[42:43], v[42:43], v[112:113], -v[78:79]
	v_mul_f64 v[78:79], v[140:141], v[106:107]
	v_fmac_f64_e32 v[24:25], v[94:95], v[112:113]
	v_mul_f64 v[52:53], v[76:77], v[106:107]
	v_fma_f64 v[94:95], v[76:77], v[104:105], -v[78:79]
	v_fmac_f64_e32 v[52:53], v[140:141], v[104:105]
	v_add_f64 v[76:77], v[42:43], -v[94:95]
	v_fmac_f64_e32 v[56:57], s[10:11], v[48:49]
	v_fmac_f64_e32 v[68:69], s[10:11], v[48:49]
	v_add_f64 v[48:49], v[24:25], -v[28:29]
	v_add_f64 v[86:87], v[52:53], -v[84:85]
	;; [unrolled: 1-line block ×3, first 2 shown]
	v_fma_f64 v[78:79], s[12:13], v[76:77], v[82:83]
	v_fmac_f64_e32 v[82:83], s[0:1], v[76:77]
	v_add_f64 v[48:49], v[48:49], v[86:87]
	v_fmac_f64_e32 v[78:79], s[4:5], v[46:47]
	v_fmac_f64_e32 v[82:83], s[14:15], v[46:47]
	;; [unrolled: 1-line block ×4, first 2 shown]
	v_add_f64 v[48:49], v[28:29], -v[24:25]
	v_add_f64 v[80:81], v[84:85], -v[52:53]
	v_add_f64 v[80:81], v[48:49], v[80:81]
	v_add_f64 v[48:49], v[24:25], v[52:53]
	v_fma_f64 v[86:87], -0.5, v[48:49], v[102:103]
	v_fma_f64 v[48:49], s[0:1], v[46:47], v[86:87]
	v_fmac_f64_e32 v[86:87], s[12:13], v[46:47]
	v_add_f64 v[46:47], v[28:29], v[102:103]
	v_add_f64 v[46:47], v[24:25], v[46:47]
	;; [unrolled: 1-line block ×3, first 2 shown]
	v_fmac_f64_e32 v[48:49], s[4:5], v[76:77]
	v_fmac_f64_e32 v[86:87], s[14:15], v[76:77]
	v_add_f64 v[90:91], v[84:85], v[46:47]
	v_add_f64 v[46:47], v[42:43], -v[88:89]
	v_add_f64 v[76:77], v[94:95], -v[98:99]
	v_add_f64 v[46:47], v[46:47], v[76:77]
	v_add_f64 v[76:77], v[88:89], v[98:99]
	v_fmac_f64_e32 v[48:49], s[10:11], v[80:81]
	v_fmac_f64_e32 v[86:87], s[10:11], v[80:81]
	v_fma_f64 v[80:81], -0.5, v[76:77], v[38:39]
	v_add_f64 v[24:25], v[24:25], -v[52:53]
	v_fma_f64 v[76:77], s[0:1], v[24:25], v[80:81]
	v_add_f64 v[28:29], v[28:29], -v[84:85]
	v_fmac_f64_e32 v[80:81], s[12:13], v[24:25]
	v_fmac_f64_e32 v[76:77], s[14:15], v[28:29]
	;; [unrolled: 1-line block ×5, first 2 shown]
	v_add_f64 v[46:47], v[88:89], -v[42:43]
	v_add_f64 v[52:53], v[98:99], -v[94:95]
	v_add_f64 v[52:53], v[46:47], v[52:53]
	v_add_f64 v[46:47], v[42:43], v[94:95]
	v_fma_f64 v[84:85], -0.5, v[46:47], v[38:39]
	v_fma_f64 v[46:47], s[12:13], v[28:29], v[84:85]
	v_fmac_f64_e32 v[84:85], s[0:1], v[28:29]
	v_fmac_f64_e32 v[46:47], s[14:15], v[24:25]
	;; [unrolled: 1-line block ×3, first 2 shown]
	v_add_f64 v[24:25], v[38:39], v[88:89]
	v_add_f64 v[24:25], v[42:43], v[24:25]
	v_add_f64 v[24:25], v[24:25], v[94:95]
	v_add_co_u32_e32 v28, vcc, s2, v122
	v_add_f64 v[88:89], v[24:25], v[98:99]
	v_lshl_add_u64 v[24:25], v[122:123], 0, s[18:19]
	v_addc_co_u32_e32 v29, vcc, 0, v123, vcc
	global_load_dwordx4 v[102:105], v[24:25], off offset:32
	global_load_dwordx4 v[112:115], v[24:25], off offset:16
	;; [unrolled: 1-line block ×4, first 2 shown]
	v_add_u32_e32 v38, 0x800, v130
	v_add_u32_e32 v24, 0x1c00, v130
	ds_read2_b64 v[140:143], v38 offset0:69 offset1:134
	ds_read2_b64 v[152:155], v24 offset0:79 offset1:144
	v_fmac_f64_e32 v[46:47], s[10:11], v[52:53]
	v_fmac_f64_e32 v[84:85], s[10:11], v[52:53]
	s_waitcnt vmcnt(6)
	v_mul_f64 v[28:29], v[40:41], v[118:119]
	s_waitcnt vmcnt(5)
	v_mul_f64 v[52:53], v[34:35], v[150:151]
	v_mul_f64 v[38:39], v[22:23], v[110:111]
	s_waitcnt vmcnt(4)
	v_mul_f64 v[106:107], v[44:45], v[134:135]
	v_fmac_f64_e32 v[28:29], v[92:93], v[116:117]
	s_waitcnt lgkmcnt(1)
	v_fmac_f64_e32 v[52:53], v[142:143], v[148:149]
	s_waitcnt lgkmcnt(0)
	v_fmac_f64_e32 v[38:39], v[154:155], v[108:109]
	v_fmac_f64_e32 v[106:107], v[96:97], v[132:133]
	v_add_f64 v[24:25], v[28:29], -v[52:53]
	v_add_f64 v[42:43], v[38:39], -v[106:107]
	v_add_f64 v[24:25], v[24:25], v[42:43]
	v_mul_f64 v[42:43], v[142:143], v[150:151]
	v_mul_f64 v[92:93], v[92:93], v[118:119]
	v_fma_f64 v[34:35], v[34:35], v[148:149], -v[42:43]
	v_mul_f64 v[42:43], v[96:97], v[134:135]
	v_fma_f64 v[116:117], v[40:41], v[116:117], -v[92:93]
	;; [unrolled: 2-line block ×3, first 2 shown]
	v_add_f64 v[44:45], v[52:53], v[106:107]
	v_fma_f64 v[108:109], v[22:23], v[108:109], -v[40:41]
	v_fma_f64 v[44:45], -0.5, v[44:45], v[100:101]
	v_add_f64 v[22:23], v[116:117], -v[108:109]
	v_add_f64 v[42:43], v[34:35], -v[96:97]
	v_fma_f64 v[40:41], s[12:13], v[22:23], v[44:45]
	v_fmac_f64_e32 v[44:45], s[0:1], v[22:23]
	v_fmac_f64_e32 v[40:41], s[4:5], v[42:43]
	;; [unrolled: 1-line block ×5, first 2 shown]
	v_add_f64 v[24:25], v[52:53], -v[28:29]
	v_add_f64 v[92:93], v[106:107], -v[38:39]
	v_add_f64 v[92:93], v[24:25], v[92:93]
	v_add_f64 v[24:25], v[28:29], v[38:39]
	v_fma_f64 v[94:95], -0.5, v[24:25], v[100:101]
	v_fma_f64 v[24:25], s[0:1], v[42:43], v[94:95]
	v_fmac_f64_e32 v[94:95], s[12:13], v[42:43]
	v_fmac_f64_e32 v[24:25], s[4:5], v[22:23]
	;; [unrolled: 1-line block ×3, first 2 shown]
	v_add_f64 v[22:23], v[52:53], v[100:101]
	v_add_f64 v[22:23], v[28:29], v[22:23]
	;; [unrolled: 1-line block ×4, first 2 shown]
	v_add_f64 v[22:23], v[116:117], -v[34:35]
	v_add_f64 v[42:43], v[108:109], -v[96:97]
	;; [unrolled: 1-line block ×3, first 2 shown]
	v_add_f64 v[38:39], v[34:35], v[96:97]
	v_add_f64 v[22:23], v[22:23], v[42:43]
	v_fma_f64 v[42:43], -0.5, v[38:39], v[36:37]
	v_fma_f64 v[38:39], s[0:1], v[28:29], v[42:43]
	v_add_f64 v[52:53], v[52:53], -v[106:107]
	v_fmac_f64_e32 v[42:43], s[12:13], v[28:29]
	v_fmac_f64_e32 v[38:39], s[14:15], v[52:53]
	;; [unrolled: 1-line block ×7, first 2 shown]
	v_add_f64 v[22:23], v[34:35], -v[116:117]
	v_add_f64 v[92:93], v[96:97], -v[108:109]
	v_add_f64 v[100:101], v[22:23], v[92:93]
	v_add_f64 v[22:23], v[116:117], v[108:109]
	v_fma_f64 v[92:93], -0.5, v[22:23], v[36:37]
	v_fma_f64 v[22:23], s[12:13], v[52:53], v[92:93]
	v_fmac_f64_e32 v[92:93], s[0:1], v[52:53]
	v_fmac_f64_e32 v[22:23], s[14:15], v[28:29]
	;; [unrolled: 1-line block ×3, first 2 shown]
	v_add_f64 v[28:29], v[36:37], v[34:35]
	v_add_f64 v[28:29], v[116:117], v[28:29]
	v_fmac_f64_e32 v[22:23], s[10:11], v[100:101]
	v_fmac_f64_e32 v[92:93], s[10:11], v[100:101]
	v_add_f64 v[28:29], v[28:29], v[108:109]
	s_waitcnt vmcnt(2)
	v_mul_f64 v[34:35], v[26:27], v[114:115]
	s_waitcnt vmcnt(1)
	v_mul_f64 v[100:101], v[32:33], v[138:139]
	v_mul_f64 v[106:107], v[20:21], v[104:105]
	s_waitcnt vmcnt(0)
	v_mul_f64 v[108:109], v[30:31], v[146:147]
	v_fmac_f64_e32 v[34:35], v[50:51], v[112:113]
	v_fmac_f64_e32 v[100:101], v[140:141], v[136:137]
	;; [unrolled: 1-line block ×4, first 2 shown]
	v_add_f64 v[96:97], v[28:29], v[96:97]
	v_add_f64 v[28:29], v[34:35], -v[100:101]
	v_add_f64 v[36:37], v[106:107], -v[108:109]
	ds_read_b64 v[116:117], v129
	v_add_f64 v[36:37], v[28:29], v[36:37]
	v_mul_f64 v[28:29], v[140:141], v[138:139]
	v_fma_f64 v[110:111], v[32:33], v[136:137], -v[28:29]
	v_mul_f64 v[32:33], v[50:51], v[114:115]
	v_mul_f64 v[28:29], v[54:55], v[146:147]
	v_fma_f64 v[112:113], v[26:27], v[112:113], -v[32:33]
	v_mul_f64 v[26:27], v[152:153], v[104:105]
	v_fma_f64 v[54:55], v[30:31], v[144:145], -v[28:29]
	v_add_f64 v[28:29], v[100:101], v[108:109]
	v_fma_f64 v[20:21], v[20:21], v[102:103], -v[26:27]
	s_waitcnt lgkmcnt(0)
	v_fma_f64 v[28:29], -0.5, v[28:29], v[116:117]
	v_add_f64 v[26:27], v[112:113], -v[20:21]
	v_add_f64 v[30:31], v[110:111], -v[54:55]
	v_fma_f64 v[32:33], s[12:13], v[26:27], v[28:29]
	v_fmac_f64_e32 v[28:29], s[0:1], v[26:27]
	v_fmac_f64_e32 v[32:33], s[4:5], v[30:31]
	;; [unrolled: 1-line block ×5, first 2 shown]
	v_add_f64 v[36:37], v[100:101], -v[34:35]
	v_add_f64 v[50:51], v[108:109], -v[106:107]
	v_add_f64 v[50:51], v[36:37], v[50:51]
	v_add_f64 v[36:37], v[34:35], v[106:107]
	v_fma_f64 v[36:37], -0.5, v[36:37], v[116:117]
	v_fma_f64 v[52:53], s[0:1], v[30:31], v[36:37]
	v_fmac_f64_e32 v[36:37], s[12:13], v[30:31]
	v_fmac_f64_e32 v[52:53], s[4:5], v[26:27]
	;; [unrolled: 1-line block ×3, first 2 shown]
	v_add_f64 v[26:27], v[100:101], v[116:117]
	v_add_f64 v[26:27], v[34:35], v[26:27]
	;; [unrolled: 1-line block ×4, first 2 shown]
	v_add_f64 v[26:27], v[112:113], -v[110:111]
	v_add_f64 v[30:31], v[20:21], -v[54:55]
	v_fmac_f64_e32 v[52:53], s[10:11], v[50:51]
	v_fmac_f64_e32 v[36:37], s[10:11], v[50:51]
	v_add_f64 v[50:51], v[26:27], v[30:31]
	v_add_f64 v[26:27], v[110:111], v[54:55]
	v_add_f64 v[104:105], v[34:35], -v[106:107]
	v_fma_f64 v[26:27], -0.5, v[26:27], v[124:125]
	v_fma_f64 v[30:31], s[0:1], v[104:105], v[26:27]
	v_add_f64 v[100:101], v[100:101], -v[108:109]
	v_fmac_f64_e32 v[26:27], s[12:13], v[104:105]
	v_fmac_f64_e32 v[30:31], s[14:15], v[100:101]
	;; [unrolled: 1-line block ×5, first 2 shown]
	v_add_f64 v[34:35], v[110:111], -v[112:113]
	v_add_f64 v[50:51], v[54:55], -v[20:21]
	v_add_f64 v[106:107], v[34:35], v[50:51]
	v_add_f64 v[34:35], v[112:113], v[20:21]
	v_fma_f64 v[34:35], -0.5, v[34:35], v[124:125]
	v_fma_f64 v[50:51], s[12:13], v[100:101], v[34:35]
	v_fmac_f64_e32 v[34:35], s[0:1], v[100:101]
	v_add_f64 v[100:101], v[124:125], v[110:111]
	v_add_f64 v[100:101], v[112:113], v[100:101]
	;; [unrolled: 1-line block ×3, first 2 shown]
	s_mov_b32 s0, 0xc9a633fd
	v_add_f64 v[100:101], v[20:21], v[54:55]
	v_mul_hi_u32 v20, v128, s0
	v_lshrrev_b32_e32 v20, 8, v20
	v_mul_u32_u24_e32 v20, 0x145, v20
	v_fmac_f64_e32 v[50:51], s[14:15], v[104:105]
	v_fmac_f64_e32 v[34:35], s[4:5], v[104:105]
	v_sub_u32_e32 v104, v128, v20
	v_mad_u64_u32 v[54:55], s[2:3], s16, v104, 0
	v_mov_b32_e32 v20, v55
	v_mad_u64_u32 v[20:21], s[2:3], s17, v104, v[20:21]
	v_mov_b32_e32 v55, v20
	v_lshl_add_u64 v[20:21], v[126:127], 4, s[6:7]
	v_lshl_add_u64 v[20:21], v[120:121], 4, v[20:21]
	;; [unrolled: 1-line block ×3, first 2 shown]
	global_store_dwordx4 v[54:55], v[100:103], off
	v_fmac_f64_e32 v[34:35], s[10:11], v[106:107]
	v_fmac_f64_e32 v[50:51], s[10:11], v[106:107]
	v_add_u32_e32 v101, 0x145, v104
	v_mad_u64_u32 v[54:55], s[2:3], s16, v101, 0
	v_mov_b32_e32 v100, v55
	v_mad_u64_u32 v[100:101], s[2:3], s17, v101, v[100:101]
	v_mov_b32_e32 v55, v100
	v_lshl_add_u64 v[54:55], v[54:55], 4, v[20:21]
	global_store_dwordx4 v[54:55], v[34:37], off
	s_movk_i32 s1, 0x659
	s_nop 0
	v_add_u32_e32 v37, 0x28a, v104
	v_mad_u64_u32 v[34:35], s[2:3], s16, v37, 0
	v_mov_b32_e32 v36, v35
	v_mad_u64_u32 v[36:37], s[2:3], s17, v37, v[36:37]
	v_mov_b32_e32 v35, v36
	v_lshl_add_u64 v[34:35], v[34:35], 4, v[20:21]
	global_store_dwordx4 v[34:35], v[26:29], off
	s_nop 1
	v_add_u32_e32 v29, 0x3cf, v104
	v_mad_u64_u32 v[26:27], s[2:3], s16, v29, 0
	v_mov_b32_e32 v28, v27
	v_mad_u64_u32 v[28:29], s[2:3], s17, v29, v[28:29]
	v_mov_b32_e32 v27, v28
	v_lshl_add_u64 v[26:27], v[26:27], 4, v[20:21]
	v_add_u32_e32 v29, 0x514, v104
	global_store_dwordx4 v[26:27], v[30:33], off
	v_mad_u64_u32 v[26:27], s[2:3], s16, v29, 0
	v_mov_b32_e32 v28, v27
	v_mad_u64_u32 v[28:29], s[2:3], s17, v29, v[28:29]
	v_mov_b32_e32 v27, v28
	v_lshl_add_u64 v[26:27], v[26:27], 4, v[20:21]
	global_store_dwordx4 v[26:27], v[50:53], off
	v_add_u32_e32 v26, 0x41, v128
	v_mul_hi_u32 v27, v26, s0
	v_lshrrev_b32_e32 v27, 8, v27
	v_mul_u32_u24_e32 v28, 0x145, v27
	v_sub_u32_e32 v26, v26, v28
	v_mad_u32_u24 v30, v27, s1, v26
	v_mad_u64_u32 v[26:27], s[2:3], s16, v30, 0
	v_mov_b32_e32 v28, v27
	v_mad_u64_u32 v[28:29], s[2:3], s17, v30, v[28:29]
	v_mov_b32_e32 v27, v28
	v_lshl_add_u64 v[26:27], v[26:27], 4, v[20:21]
	v_add_u32_e32 v29, 0x145, v30
	global_store_dwordx4 v[26:27], v[96:99], off
	v_mad_u64_u32 v[26:27], s[2:3], s16, v29, 0
	v_mov_b32_e32 v28, v27
	v_mad_u64_u32 v[28:29], s[2:3], s17, v29, v[28:29]
	v_mov_b32_e32 v27, v28
	v_lshl_add_u64 v[26:27], v[26:27], 4, v[20:21]
	v_add_u32_e32 v29, 0x28a, v30
	global_store_dwordx4 v[26:27], v[92:95], off
	;; [unrolled: 7-line block ×4, first 2 shown]
	v_mad_u64_u32 v[26:27], s[2:3], s16, v29, 0
	v_mov_b32_e32 v28, v27
	v_mad_u64_u32 v[28:29], s[2:3], s17, v29, v[28:29]
	v_mov_b32_e32 v27, v28
	v_lshl_add_u64 v[26:27], v[26:27], 4, v[20:21]
	global_store_dwordx4 v[26:27], v[22:25], off
	s_nop 1
	v_add_u32_e32 v22, 0x82, v128
	v_mul_hi_u32 v23, v22, s0
	v_lshrrev_b32_e32 v23, 8, v23
	v_mul_u32_u24_e32 v24, 0x145, v23
	v_sub_u32_e32 v22, v22, v24
	v_mad_u32_u24 v26, v23, s1, v22
	v_mad_u64_u32 v[22:23], s[2:3], s16, v26, 0
	v_mov_b32_e32 v24, v23
	v_mad_u64_u32 v[24:25], s[2:3], s17, v26, v[24:25]
	v_mov_b32_e32 v23, v24
	v_lshl_add_u64 v[22:23], v[22:23], 4, v[20:21]
	v_add_u32_e32 v25, 0x145, v26
	global_store_dwordx4 v[22:23], v[88:91], off
	v_mad_u64_u32 v[22:23], s[2:3], s16, v25, 0
	v_mov_b32_e32 v24, v23
	v_mad_u64_u32 v[24:25], s[2:3], s17, v25, v[24:25]
	v_mov_b32_e32 v23, v24
	v_lshl_add_u64 v[22:23], v[22:23], 4, v[20:21]
	v_add_u32_e32 v25, 0x28a, v26
	global_store_dwordx4 v[22:23], v[84:87], off
	;; [unrolled: 7-line block ×4, first 2 shown]
	v_mad_u64_u32 v[22:23], s[2:3], s16, v25, 0
	v_mov_b32_e32 v24, v23
	v_mad_u64_u32 v[24:25], s[2:3], s17, v25, v[24:25]
	v_mov_b32_e32 v23, v24
	v_lshl_add_u64 v[22:23], v[22:23], 4, v[20:21]
	global_store_dwordx4 v[22:23], v[46:49], off
	v_add_u32_e32 v22, 0xc3, v128
	v_mul_hi_u32 v23, v22, s0
	v_lshrrev_b32_e32 v23, 8, v23
	v_mul_u32_u24_e32 v24, 0x145, v23
	v_sub_u32_e32 v22, v22, v24
	v_mad_u32_u24 v26, v23, s1, v22
	v_mad_u64_u32 v[22:23], s[2:3], s16, v26, 0
	v_mov_b32_e32 v24, v23
	v_mad_u64_u32 v[24:25], s[2:3], s17, v26, v[24:25]
	v_mov_b32_e32 v23, v24
	v_lshl_add_u64 v[22:23], v[22:23], 4, v[20:21]
	v_add_u32_e32 v25, 0x145, v26
	global_store_dwordx4 v[22:23], v[72:75], off
	v_mad_u64_u32 v[22:23], s[2:3], s16, v25, 0
	v_mov_b32_e32 v24, v23
	v_mad_u64_u32 v[24:25], s[2:3], s17, v25, v[24:25]
	v_mov_b32_e32 v23, v24
	v_lshl_add_u64 v[22:23], v[22:23], 4, v[20:21]
	v_add_u32_e32 v25, 0x28a, v26
	global_store_dwordx4 v[22:23], v[68:71], off
	;; [unrolled: 7-line block ×4, first 2 shown]
	v_mad_u64_u32 v[22:23], s[2:3], s16, v25, 0
	v_mov_b32_e32 v24, v23
	v_mad_u64_u32 v[24:25], s[2:3], s17, v25, v[24:25]
	v_mov_b32_e32 v23, v24
	v_lshl_add_u64 v[22:23], v[22:23], 4, v[20:21]
	global_store_dwordx4 v[22:23], v[56:59], off
	v_add_u32_e32 v22, 0x104, v128
	v_mul_hi_u32 v23, v22, s0
	v_lshrrev_b32_e32 v23, 8, v23
	v_mul_u32_u24_e32 v24, 0x145, v23
	v_sub_u32_e32 v22, v22, v24
	v_mad_u32_u24 v26, v23, s1, v22
	v_mad_u64_u32 v[22:23], s[0:1], s16, v26, 0
	v_mov_b32_e32 v24, v23
	v_mad_u64_u32 v[24:25], s[0:1], s17, v26, v[24:25]
	v_mov_b32_e32 v23, v24
	v_lshl_add_u64 v[22:23], v[22:23], 4, v[20:21]
	global_store_dwordx4 v[22:23], v[16:19], off
	s_nop 1
	v_add_u32_e32 v19, 0x145, v26
	v_mad_u64_u32 v[16:17], s[0:1], s16, v19, 0
	v_mov_b32_e32 v18, v17
	v_mad_u64_u32 v[18:19], s[0:1], s17, v19, v[18:19]
	v_mov_b32_e32 v17, v18
	v_lshl_add_u64 v[16:17], v[16:17], 4, v[20:21]
	global_store_dwordx4 v[16:17], v[12:15], off
	s_nop 1
	v_add_u32_e32 v15, 0x28a, v26
	;; [unrolled: 8-line block ×4, first 2 shown]
	v_mad_u64_u32 v[4:5], s[0:1], s16, v7, 0
	v_mov_b32_e32 v6, v5
	v_mad_u64_u32 v[6:7], s[0:1], s17, v7, v[6:7]
	v_mov_b32_e32 v5, v6
	v_lshl_add_u64 v[4:5], v[4:5], 4, v[20:21]
	global_store_dwordx4 v[4:5], v[0:3], off
.LBB0_21:
	s_endpgm
	.section	.rodata,"a",@progbits
	.p2align	6, 0x0
	.amdhsa_kernel fft_rtc_fwd_len1625_factors_13_5_5_5_wgs_130_tpt_65_halfLds_dp_op_CI_CI_sbrr_dirReg
		.amdhsa_group_segment_fixed_size 0
		.amdhsa_private_segment_fixed_size 0
		.amdhsa_kernarg_size 104
		.amdhsa_user_sgpr_count 2
		.amdhsa_user_sgpr_dispatch_ptr 0
		.amdhsa_user_sgpr_queue_ptr 0
		.amdhsa_user_sgpr_kernarg_segment_ptr 1
		.amdhsa_user_sgpr_dispatch_id 0
		.amdhsa_user_sgpr_kernarg_preload_length 0
		.amdhsa_user_sgpr_kernarg_preload_offset 0
		.amdhsa_user_sgpr_private_segment_size 0
		.amdhsa_uses_dynamic_stack 0
		.amdhsa_enable_private_segment 0
		.amdhsa_system_sgpr_workgroup_id_x 1
		.amdhsa_system_sgpr_workgroup_id_y 0
		.amdhsa_system_sgpr_workgroup_id_z 0
		.amdhsa_system_sgpr_workgroup_info 0
		.amdhsa_system_vgpr_workitem_id 0
		.amdhsa_next_free_vgpr 236
		.amdhsa_next_free_sgpr 50
		.amdhsa_accum_offset 236
		.amdhsa_reserve_vcc 1
		.amdhsa_float_round_mode_32 0
		.amdhsa_float_round_mode_16_64 0
		.amdhsa_float_denorm_mode_32 3
		.amdhsa_float_denorm_mode_16_64 3
		.amdhsa_dx10_clamp 1
		.amdhsa_ieee_mode 1
		.amdhsa_fp16_overflow 0
		.amdhsa_tg_split 0
		.amdhsa_exception_fp_ieee_invalid_op 0
		.amdhsa_exception_fp_denorm_src 0
		.amdhsa_exception_fp_ieee_div_zero 0
		.amdhsa_exception_fp_ieee_overflow 0
		.amdhsa_exception_fp_ieee_underflow 0
		.amdhsa_exception_fp_ieee_inexact 0
		.amdhsa_exception_int_div_zero 0
	.end_amdhsa_kernel
	.text
.Lfunc_end0:
	.size	fft_rtc_fwd_len1625_factors_13_5_5_5_wgs_130_tpt_65_halfLds_dp_op_CI_CI_sbrr_dirReg, .Lfunc_end0-fft_rtc_fwd_len1625_factors_13_5_5_5_wgs_130_tpt_65_halfLds_dp_op_CI_CI_sbrr_dirReg
                                        ; -- End function
	.section	.AMDGPU.csdata,"",@progbits
; Kernel info:
; codeLenInByte = 21224
; NumSgprs: 56
; NumVgprs: 236
; NumAgprs: 0
; TotalNumVgprs: 236
; ScratchSize: 0
; MemoryBound: 1
; FloatMode: 240
; IeeeMode: 1
; LDSByteSize: 0 bytes/workgroup (compile time only)
; SGPRBlocks: 6
; VGPRBlocks: 29
; NumSGPRsForWavesPerEU: 56
; NumVGPRsForWavesPerEU: 236
; AccumOffset: 236
; Occupancy: 2
; WaveLimiterHint : 1
; COMPUTE_PGM_RSRC2:SCRATCH_EN: 0
; COMPUTE_PGM_RSRC2:USER_SGPR: 2
; COMPUTE_PGM_RSRC2:TRAP_HANDLER: 0
; COMPUTE_PGM_RSRC2:TGID_X_EN: 1
; COMPUTE_PGM_RSRC2:TGID_Y_EN: 0
; COMPUTE_PGM_RSRC2:TGID_Z_EN: 0
; COMPUTE_PGM_RSRC2:TIDIG_COMP_CNT: 0
; COMPUTE_PGM_RSRC3_GFX90A:ACCUM_OFFSET: 58
; COMPUTE_PGM_RSRC3_GFX90A:TG_SPLIT: 0
	.text
	.p2alignl 6, 3212836864
	.fill 256, 4, 3212836864
	.type	__hip_cuid_e980db21a70e2062,@object ; @__hip_cuid_e980db21a70e2062
	.section	.bss,"aw",@nobits
	.globl	__hip_cuid_e980db21a70e2062
__hip_cuid_e980db21a70e2062:
	.byte	0                               ; 0x0
	.size	__hip_cuid_e980db21a70e2062, 1

	.ident	"AMD clang version 19.0.0git (https://github.com/RadeonOpenCompute/llvm-project roc-6.4.0 25133 c7fe45cf4b819c5991fe208aaa96edf142730f1d)"
	.section	".note.GNU-stack","",@progbits
	.addrsig
	.addrsig_sym __hip_cuid_e980db21a70e2062
	.amdgpu_metadata
---
amdhsa.kernels:
  - .agpr_count:     0
    .args:
      - .actual_access:  read_only
        .address_space:  global
        .offset:         0
        .size:           8
        .value_kind:     global_buffer
      - .offset:         8
        .size:           8
        .value_kind:     by_value
      - .actual_access:  read_only
        .address_space:  global
        .offset:         16
        .size:           8
        .value_kind:     global_buffer
      - .actual_access:  read_only
        .address_space:  global
        .offset:         24
        .size:           8
        .value_kind:     global_buffer
      - .actual_access:  read_only
        .address_space:  global
        .offset:         32
        .size:           8
        .value_kind:     global_buffer
      - .offset:         40
        .size:           8
        .value_kind:     by_value
      - .actual_access:  read_only
        .address_space:  global
        .offset:         48
        .size:           8
        .value_kind:     global_buffer
      - .actual_access:  read_only
        .address_space:  global
        .offset:         56
        .size:           8
        .value_kind:     global_buffer
      - .offset:         64
        .size:           4
        .value_kind:     by_value
      - .actual_access:  read_only
        .address_space:  global
        .offset:         72
        .size:           8
        .value_kind:     global_buffer
      - .actual_access:  read_only
        .address_space:  global
        .offset:         80
        .size:           8
        .value_kind:     global_buffer
      - .actual_access:  read_only
        .address_space:  global
        .offset:         88
        .size:           8
        .value_kind:     global_buffer
      - .actual_access:  write_only
        .address_space:  global
        .offset:         96
        .size:           8
        .value_kind:     global_buffer
    .group_segment_fixed_size: 0
    .kernarg_segment_align: 8
    .kernarg_segment_size: 104
    .language:       OpenCL C
    .language_version:
      - 2
      - 0
    .max_flat_workgroup_size: 130
    .name:           fft_rtc_fwd_len1625_factors_13_5_5_5_wgs_130_tpt_65_halfLds_dp_op_CI_CI_sbrr_dirReg
    .private_segment_fixed_size: 0
    .sgpr_count:     56
    .sgpr_spill_count: 0
    .symbol:         fft_rtc_fwd_len1625_factors_13_5_5_5_wgs_130_tpt_65_halfLds_dp_op_CI_CI_sbrr_dirReg.kd
    .uniform_work_group_size: 1
    .uses_dynamic_stack: false
    .vgpr_count:     236
    .vgpr_spill_count: 0
    .wavefront_size: 64
amdhsa.target:   amdgcn-amd-amdhsa--gfx950
amdhsa.version:
  - 1
  - 2
...

	.end_amdgpu_metadata
